;; amdgpu-corpus repo=ROCm/rocFFT kind=compiled arch=gfx906 opt=O3
	.text
	.amdgcn_target "amdgcn-amd-amdhsa--gfx906"
	.amdhsa_code_object_version 6
	.protected	fft_rtc_back_len546_factors_13_3_7_2_wgs_117_tpt_39_halfLds_half_op_CI_CI_unitstride_sbrr_C2R_dirReg ; -- Begin function fft_rtc_back_len546_factors_13_3_7_2_wgs_117_tpt_39_halfLds_half_op_CI_CI_unitstride_sbrr_C2R_dirReg
	.globl	fft_rtc_back_len546_factors_13_3_7_2_wgs_117_tpt_39_halfLds_half_op_CI_CI_unitstride_sbrr_C2R_dirReg
	.p2align	8
	.type	fft_rtc_back_len546_factors_13_3_7_2_wgs_117_tpt_39_halfLds_half_op_CI_CI_unitstride_sbrr_C2R_dirReg,@function
fft_rtc_back_len546_factors_13_3_7_2_wgs_117_tpt_39_halfLds_half_op_CI_CI_unitstride_sbrr_C2R_dirReg: ; @fft_rtc_back_len546_factors_13_3_7_2_wgs_117_tpt_39_halfLds_half_op_CI_CI_unitstride_sbrr_C2R_dirReg
; %bb.0:
	v_mul_u32_u24_e32 v1, 0x691, v0
	s_load_dwordx4 s[8:11], s[4:5], 0x58
	s_load_dwordx4 s[12:15], s[4:5], 0x0
	;; [unrolled: 1-line block ×3, first 2 shown]
	v_lshrrev_b32_e32 v1, 16, v1
	v_mad_u64_u32 v[8:9], s[0:1], s6, 3, v[1:2]
	v_mov_b32_e32 v10, 0
	s_waitcnt lgkmcnt(0)
	v_cmp_lt_u64_e64 s[0:1], s[14:15], 2
	v_mov_b32_e32 v6, 0
	v_mov_b32_e32 v9, v10
	;; [unrolled: 1-line block ×5, first 2 shown]
	s_and_b64 vcc, exec, s[0:1]
	v_mov_b32_e32 v2, v7
	v_mov_b32_e32 v4, v9
	s_cbranch_vccnz .LBB0_8
; %bb.1:
	s_load_dwordx2 s[0:1], s[4:5], 0x10
	s_add_u32 s2, s18, 8
	s_addc_u32 s3, s19, 0
	s_add_u32 s6, s16, 8
	s_addc_u32 s7, s17, 0
	v_mov_b32_e32 v6, 0
	s_waitcnt lgkmcnt(0)
	s_add_u32 s20, s0, 8
	v_mov_b32_e32 v7, 0
	v_mov_b32_e32 v1, v6
	;; [unrolled: 1-line block ×3, first 2 shown]
	s_addc_u32 s21, s1, 0
	s_mov_b64 s[22:23], 1
	v_mov_b32_e32 v2, v7
	v_mov_b32_e32 v12, v8
.LBB0_2:                                ; =>This Inner Loop Header: Depth=1
	s_load_dwordx2 s[24:25], s[20:21], 0x0
                                        ; implicit-def: $vgpr3_vgpr4
	s_waitcnt lgkmcnt(0)
	v_or_b32_e32 v11, s25, v13
	v_cmp_ne_u64_e32 vcc, 0, v[10:11]
	s_and_saveexec_b64 s[0:1], vcc
	s_xor_b64 s[26:27], exec, s[0:1]
	s_cbranch_execz .LBB0_4
; %bb.3:                                ;   in Loop: Header=BB0_2 Depth=1
	v_cvt_f32_u32_e32 v3, s24
	v_cvt_f32_u32_e32 v4, s25
	s_sub_u32 s0, 0, s24
	s_subb_u32 s1, 0, s25
	v_mac_f32_e32 v3, 0x4f800000, v4
	v_rcp_f32_e32 v3, v3
	v_mul_f32_e32 v3, 0x5f7ffffc, v3
	v_mul_f32_e32 v4, 0x2f800000, v3
	v_trunc_f32_e32 v4, v4
	v_mac_f32_e32 v3, 0xcf800000, v4
	v_cvt_u32_f32_e32 v4, v4
	v_cvt_u32_f32_e32 v3, v3
	v_mul_lo_u32 v5, s0, v4
	v_mul_hi_u32 v9, s0, v3
	v_mul_lo_u32 v14, s1, v3
	v_mul_lo_u32 v11, s0, v3
	v_add_u32_e32 v5, v9, v5
	v_add_u32_e32 v5, v5, v14
	v_mul_hi_u32 v9, v3, v11
	v_mul_lo_u32 v14, v3, v5
	v_mul_hi_u32 v16, v3, v5
	v_mul_hi_u32 v15, v4, v11
	v_mul_lo_u32 v11, v4, v11
	v_mul_hi_u32 v17, v4, v5
	v_add_co_u32_e32 v9, vcc, v9, v14
	v_addc_co_u32_e32 v14, vcc, 0, v16, vcc
	v_mul_lo_u32 v5, v4, v5
	v_add_co_u32_e32 v9, vcc, v9, v11
	v_addc_co_u32_e32 v9, vcc, v14, v15, vcc
	v_addc_co_u32_e32 v11, vcc, 0, v17, vcc
	v_add_co_u32_e32 v5, vcc, v9, v5
	v_addc_co_u32_e32 v9, vcc, 0, v11, vcc
	v_add_co_u32_e32 v3, vcc, v3, v5
	v_addc_co_u32_e32 v4, vcc, v4, v9, vcc
	v_mul_lo_u32 v5, s0, v4
	v_mul_hi_u32 v9, s0, v3
	v_mul_lo_u32 v11, s1, v3
	v_mul_lo_u32 v14, s0, v3
	v_add_u32_e32 v5, v9, v5
	v_add_u32_e32 v5, v5, v11
	v_mul_lo_u32 v15, v3, v5
	v_mul_hi_u32 v16, v3, v14
	v_mul_hi_u32 v17, v3, v5
	;; [unrolled: 1-line block ×3, first 2 shown]
	v_mul_lo_u32 v14, v4, v14
	v_mul_hi_u32 v9, v4, v5
	v_add_co_u32_e32 v15, vcc, v16, v15
	v_addc_co_u32_e32 v16, vcc, 0, v17, vcc
	v_mul_lo_u32 v5, v4, v5
	v_add_co_u32_e32 v14, vcc, v15, v14
	v_addc_co_u32_e32 v11, vcc, v16, v11, vcc
	v_addc_co_u32_e32 v9, vcc, 0, v9, vcc
	v_add_co_u32_e32 v5, vcc, v11, v5
	v_addc_co_u32_e32 v9, vcc, 0, v9, vcc
	v_add_co_u32_e32 v5, vcc, v3, v5
	v_addc_co_u32_e32 v9, vcc, v4, v9, vcc
	v_mad_u64_u32 v[3:4], s[0:1], v12, v9, 0
	v_mul_hi_u32 v11, v12, v5
	v_mad_u64_u32 v[14:15], s[0:1], v13, v9, 0
	v_add_co_u32_e32 v11, vcc, v11, v3
	v_addc_co_u32_e32 v16, vcc, 0, v4, vcc
	v_mad_u64_u32 v[3:4], s[0:1], v13, v5, 0
	v_add_co_u32_e32 v3, vcc, v11, v3
	v_addc_co_u32_e32 v3, vcc, v16, v4, vcc
	v_addc_co_u32_e32 v4, vcc, 0, v15, vcc
	v_add_co_u32_e32 v5, vcc, v3, v14
	v_addc_co_u32_e32 v9, vcc, 0, v4, vcc
	v_mul_lo_u32 v11, s25, v5
	v_mul_lo_u32 v14, s24, v9
	v_mad_u64_u32 v[3:4], s[0:1], s24, v5, 0
	v_add3_u32 v4, v4, v14, v11
	v_sub_u32_e32 v11, v13, v4
	v_mov_b32_e32 v14, s25
	v_sub_co_u32_e32 v3, vcc, v12, v3
	v_subb_co_u32_e64 v11, s[0:1], v11, v14, vcc
	v_subrev_co_u32_e64 v14, s[0:1], s24, v3
	v_subbrev_co_u32_e64 v11, s[0:1], 0, v11, s[0:1]
	v_cmp_le_u32_e64 s[0:1], s25, v11
	v_cndmask_b32_e64 v15, 0, -1, s[0:1]
	v_cmp_le_u32_e64 s[0:1], s24, v14
	v_cndmask_b32_e64 v14, 0, -1, s[0:1]
	v_cmp_eq_u32_e64 s[0:1], s25, v11
	v_cndmask_b32_e64 v11, v15, v14, s[0:1]
	v_add_co_u32_e64 v14, s[0:1], 2, v5
	v_addc_co_u32_e64 v15, s[0:1], 0, v9, s[0:1]
	v_add_co_u32_e64 v16, s[0:1], 1, v5
	v_addc_co_u32_e64 v17, s[0:1], 0, v9, s[0:1]
	v_subb_co_u32_e32 v4, vcc, v13, v4, vcc
	v_cmp_ne_u32_e64 s[0:1], 0, v11
	v_cmp_le_u32_e32 vcc, s25, v4
	v_cndmask_b32_e64 v11, v17, v15, s[0:1]
	v_cndmask_b32_e64 v15, 0, -1, vcc
	v_cmp_le_u32_e32 vcc, s24, v3
	v_cndmask_b32_e64 v3, 0, -1, vcc
	v_cmp_eq_u32_e32 vcc, s25, v4
	v_cndmask_b32_e32 v3, v15, v3, vcc
	v_cmp_ne_u32_e32 vcc, 0, v3
	v_cndmask_b32_e64 v3, v16, v14, s[0:1]
	v_cndmask_b32_e32 v4, v9, v11, vcc
	v_cndmask_b32_e32 v3, v5, v3, vcc
.LBB0_4:                                ;   in Loop: Header=BB0_2 Depth=1
	s_andn2_saveexec_b64 s[0:1], s[26:27]
	s_cbranch_execz .LBB0_6
; %bb.5:                                ;   in Loop: Header=BB0_2 Depth=1
	v_cvt_f32_u32_e32 v3, s24
	s_sub_i32 s26, 0, s24
	v_rcp_iflag_f32_e32 v3, v3
	v_mul_f32_e32 v3, 0x4f7ffffe, v3
	v_cvt_u32_f32_e32 v3, v3
	v_mul_lo_u32 v4, s26, v3
	v_mul_hi_u32 v4, v3, v4
	v_add_u32_e32 v3, v3, v4
	v_mul_hi_u32 v3, v12, v3
	v_mul_lo_u32 v4, v3, s24
	v_add_u32_e32 v5, 1, v3
	v_sub_u32_e32 v4, v12, v4
	v_subrev_u32_e32 v9, s24, v4
	v_cmp_le_u32_e32 vcc, s24, v4
	v_cndmask_b32_e32 v4, v4, v9, vcc
	v_cndmask_b32_e32 v3, v3, v5, vcc
	v_add_u32_e32 v5, 1, v3
	v_cmp_le_u32_e32 vcc, s24, v4
	v_cndmask_b32_e32 v3, v3, v5, vcc
	v_mov_b32_e32 v4, v10
.LBB0_6:                                ;   in Loop: Header=BB0_2 Depth=1
	s_or_b64 exec, exec, s[0:1]
	v_mul_lo_u32 v5, v4, s24
	v_mul_lo_u32 v9, v3, s25
	v_mad_u64_u32 v[14:15], s[0:1], v3, s24, 0
	s_load_dwordx2 s[0:1], s[6:7], 0x0
	s_load_dwordx2 s[24:25], s[2:3], 0x0
	v_add3_u32 v5, v15, v9, v5
	v_sub_co_u32_e32 v9, vcc, v12, v14
	v_subb_co_u32_e32 v5, vcc, v13, v5, vcc
	s_waitcnt lgkmcnt(0)
	v_mul_lo_u32 v11, s0, v5
	v_mul_lo_u32 v12, s1, v9
	v_mad_u64_u32 v[6:7], s[0:1], s0, v9, v[6:7]
	s_add_u32 s22, s22, 1
	s_addc_u32 s23, s23, 0
	s_add_u32 s2, s2, 8
	v_mul_lo_u32 v5, s24, v5
	v_mul_lo_u32 v13, s25, v9
	v_mad_u64_u32 v[1:2], s[0:1], s24, v9, v[1:2]
	v_add3_u32 v7, v12, v7, v11
	s_addc_u32 s3, s3, 0
	v_mov_b32_e32 v11, s14
	s_add_u32 s6, s6, 8
	v_mov_b32_e32 v12, s15
	s_addc_u32 s7, s7, 0
	v_cmp_ge_u64_e32 vcc, s[22:23], v[11:12]
	s_add_u32 s20, s20, 8
	v_add3_u32 v2, v13, v2, v5
	s_addc_u32 s21, s21, 0
	s_cbranch_vccnz .LBB0_8
; %bb.7:                                ;   in Loop: Header=BB0_2 Depth=1
	v_mov_b32_e32 v13, v4
	v_mov_b32_e32 v12, v3
	s_branch .LBB0_2
.LBB0_8:
	s_mov_b32 s2, 0xaaaaaaab
	s_load_dwordx2 s[0:1], s[4:5], 0x28
	v_mul_hi_u32 v5, v8, s2
	s_lshl_b64 s[6:7], s[14:15], 3
	s_add_u32 s2, s18, s6
	s_addc_u32 s3, s19, s7
	v_lshrrev_b32_e32 v5, 1, v5
	v_lshl_add_u32 v5, v5, 1, v5
	s_waitcnt lgkmcnt(0)
	v_cmp_gt_u64_e32 vcc, s[0:1], v[3:4]
	v_cmp_le_u64_e64 s[0:1], s[0:1], v[3:4]
	v_sub_u32_e32 v10, v8, v5
                                        ; implicit-def: $vgpr5
                                        ; implicit-def: $vgpr8_vgpr9
	s_and_saveexec_b64 s[4:5], s[0:1]
	s_xor_b64 s[0:1], exec, s[4:5]
; %bb.9:
	s_mov_b32 s4, 0x6906907
	v_mul_hi_u32 v5, v0, s4
	v_mov_b32_e32 v6, 0
	v_mul_u32_u24_e32 v5, 39, v5
	v_sub_u32_e32 v5, v0, v5
	v_mov_b32_e32 v9, v6
	v_mov_b32_e32 v8, v5
                                        ; implicit-def: $vgpr0
                                        ; implicit-def: $vgpr6_vgpr7
; %bb.10:
	s_or_saveexec_b64 s[4:5], s[0:1]
	s_load_dwordx2 s[2:3], s[2:3], 0x0
	v_mul_u32_u24_e32 v24, 0x223, v10
	v_lshlrev_b32_e32 v26, 2, v24
	s_xor_b64 exec, exec, s[4:5]
	s_cbranch_execz .LBB0_14
; %bb.11:
	s_add_u32 s0, s16, s6
	s_addc_u32 s1, s17, s7
	s_load_dwordx2 s[0:1], s[0:1], 0x0
	s_mov_b32 s6, 0x6906907
	v_mul_hi_u32 v5, v0, s6
	v_lshlrev_b64 v[6:7], 2, v[6:7]
	s_waitcnt lgkmcnt(0)
	v_mul_lo_u32 v10, s1, v3
	v_mul_lo_u32 v11, s0, v4
	v_mad_u64_u32 v[8:9], s[0:1], s0, v3, 0
	v_mul_u32_u24_e32 v5, 39, v5
	v_sub_u32_e32 v5, v0, v5
	v_add3_u32 v9, v9, v11, v10
	v_lshlrev_b64 v[8:9], 2, v[8:9]
	v_mov_b32_e32 v0, s9
	v_add_co_u32_e64 v8, s[0:1], s8, v8
	v_addc_co_u32_e64 v0, s[0:1], v0, v9, s[0:1]
	v_add_co_u32_e64 v10, s[0:1], v8, v6
	v_addc_co_u32_e64 v11, s[0:1], v0, v7, s[0:1]
	v_lshlrev_b32_e32 v0, 2, v5
	v_add_co_u32_e64 v6, s[0:1], v10, v0
	v_addc_co_u32_e64 v7, s[0:1], 0, v11, s[0:1]
	global_load_dword v8, v[6:7], off
	global_load_dword v9, v[6:7], off offset:156
	global_load_dword v12, v[6:7], off offset:312
	;; [unrolled: 1-line block ×13, first 2 shown]
	v_mov_b32_e32 v6, 0
	v_add3_u32 v0, 0, v26, v0
	v_add_u32_e32 v7, 0x200, v0
	v_add_u32_e32 v25, 0x400, v0
	v_cmp_eq_u32_e64 s[0:1], 38, v5
	s_waitcnt vmcnt(12)
	ds_write2_b32 v0, v8, v9 offset1:39
	s_waitcnt vmcnt(10)
	ds_write2_b32 v0, v12, v13 offset0:78 offset1:117
	s_waitcnt vmcnt(8)
	ds_write2_b32 v0, v14, v15 offset0:156 offset1:195
	;; [unrolled: 2-line block ×6, first 2 shown]
	v_mov_b32_e32 v9, v6
	v_mov_b32_e32 v8, v5
	s_and_saveexec_b64 s[6:7], s[0:1]
	s_cbranch_execz .LBB0_13
; %bb.12:
	global_load_dword v5, v[10:11], off offset:2184
	v_mov_b32_e32 v8, 38
	v_mov_b32_e32 v9, 0
	s_waitcnt vmcnt(0)
	ds_write_b32 v0, v5 offset:2032
	v_mov_b32_e32 v5, 38
.LBB0_13:
	s_or_b64 exec, exec, s[6:7]
.LBB0_14:
	s_or_b64 exec, exec, s[4:5]
	v_lshl_add_u32 v0, v24, 2, 0
	v_lshlrev_b32_e32 v6, 2, v5
	v_add_u32_e32 v25, v0, v6
	s_waitcnt lgkmcnt(0)
	s_barrier
	v_sub_u32_e32 v11, v0, v6
	ds_read_u16 v6, v25
	ds_read_u16 v12, v11 offset:2184
	v_lshlrev_b64 v[7:8], 2, v[8:9]
	v_cmp_ne_u32_e64 s[0:1], 0, v5
	s_waitcnt lgkmcnt(0)
	v_add_f16_e32 v10, v12, v6
	v_sub_f16_e32 v6, v6, v12
	s_and_saveexec_b64 s[4:5], s[0:1]
	s_xor_b64 s[4:5], exec, s[4:5]
	s_cbranch_execz .LBB0_16
; %bb.15:
	v_mov_b32_e32 v9, s13
	v_add_co_u32_e64 v12, s[0:1], s12, v7
	v_addc_co_u32_e64 v13, s[0:1], v9, v8, s[0:1]
	global_load_dword v9, v[12:13], off offset:2132
	ds_read_u16 v12, v11 offset:2186
	ds_read_u16 v13, v25 offset:2
	s_waitcnt lgkmcnt(0)
	v_add_f16_e32 v14, v12, v13
	v_sub_f16_e32 v12, v13, v12
	s_waitcnt vmcnt(0)
	v_lshrrev_b32_e32 v13, 16, v9
	v_fma_f16 v15, v6, v13, v10
	v_fma_f16 v16, v14, v13, v12
	v_fma_f16 v10, -v6, v13, v10
	v_fma_f16 v12, v14, v13, -v12
	v_fma_f16 v13, -v9, v14, v15
	v_fma_f16 v15, v6, v9, v16
	v_fma_f16 v10, v9, v14, v10
	;; [unrolled: 1-line block ×3, first 2 shown]
	v_pack_b32_f16 v9, v13, v15
	v_pack_b32_f16 v6, v10, v6
	ds_write_b32 v25, v9
	ds_write_b32 v11, v6 offset:2184
                                        ; implicit-def: $vgpr10
                                        ; implicit-def: $vgpr6
.LBB0_16:
	s_andn2_saveexec_b64 s[0:1], s[4:5]
	s_cbranch_execz .LBB0_18
; %bb.17:
	v_pack_b32_f16 v6, v10, v6
	ds_write_b32 v25, v6
	ds_read_b32 v6, v0 offset:1092
	s_mov_b32 s4, 0xc0004000
	s_waitcnt lgkmcnt(0)
	v_pk_mul_f16 v6, v6, s4
	ds_write_b32 v0, v6 offset:1092
.LBB0_18:
	s_or_b64 exec, exec, s[0:1]
	v_mov_b32_e32 v6, 0
	s_add_u32 s0, s12, 0x854
	v_lshlrev_b64 v[9:10], 2, v[5:6]
	s_addc_u32 s1, s13, 0
	v_mov_b32_e32 v6, s1
	v_add_co_u32_e64 v12, s[0:1], s0, v9
	v_addc_co_u32_e64 v13, s[0:1], v6, v10, s[0:1]
	global_load_dword v6, v[12:13], off offset:156
	global_load_dword v14, v[12:13], off offset:312
	;; [unrolled: 1-line block ×4, first 2 shown]
	ds_read_b32 v17, v25 offset:156
	ds_read_b32 v18, v11 offset:2028
	global_load_dword v19, v[12:13], off offset:780
	global_load_dword v20, v[12:13], off offset:936
	v_lshl_add_u32 v27, v5, 2, 0
	s_mov_b32 s25, 0xb770
	s_movk_i32 s15, 0x3b15
	s_waitcnt lgkmcnt(0)
	v_add_f16_e32 v12, v17, v18
	v_add_f16_sdwa v13, v18, v17 dst_sel:DWORD dst_unused:UNUSED_PAD src0_sel:WORD_1 src1_sel:WORD_1
	v_sub_f16_e32 v21, v17, v18
	v_sub_f16_sdwa v17, v17, v18 dst_sel:DWORD dst_unused:UNUSED_PAD src0_sel:WORD_1 src1_sel:WORD_1
	s_mov_b32 s19, 0xba95
	s_mov_b32 s6, 0xffff
	s_movk_i32 s8, 0x388b
	s_mov_b32 s23, 0xbbf1
	s_movk_i32 s14, 0x2fb7
	s_mov_b32 s7, 0xbb7b
	s_mov_b32 s17, 0xb5ac
	;; [unrolled: 1-line block ×6, first 2 shown]
	s_movk_i32 s21, 0x3a95
	s_movk_i32 s26, 0x3b7b
	;; [unrolled: 1-line block ×6, first 2 shown]
	s_waitcnt vmcnt(5)
	v_lshrrev_b32_e32 v18, 16, v6
	v_fma_f16 v22, v21, v18, v12
	v_fma_f16 v23, v13, v18, v17
	v_fma_f16 v12, -v21, v18, v12
	v_fma_f16 v17, v13, v18, -v17
	v_fma_f16 v18, -v6, v13, v22
	v_fma_f16 v22, v21, v6, v23
	v_fma_f16 v12, v6, v13, v12
	v_fma_f16 v6, v21, v6, v17
	v_pack_b32_f16 v13, v18, v22
	v_pack_b32_f16 v6, v12, v6
	ds_write_b32 v25, v13 offset:156
	ds_write_b32 v11, v6 offset:2028
	ds_read_b32 v6, v25 offset:312
	ds_read_b32 v12, v11 offset:1872
	s_waitcnt vmcnt(4)
	v_lshrrev_b32_e32 v13, 16, v14
	s_waitcnt lgkmcnt(0)
	v_add_f16_e32 v17, v6, v12
	v_add_f16_sdwa v18, v12, v6 dst_sel:DWORD dst_unused:UNUSED_PAD src0_sel:WORD_1 src1_sel:WORD_1
	v_sub_f16_e32 v21, v6, v12
	v_sub_f16_sdwa v6, v6, v12 dst_sel:DWORD dst_unused:UNUSED_PAD src0_sel:WORD_1 src1_sel:WORD_1
	v_fma_f16 v12, v21, v13, v17
	v_fma_f16 v22, v18, v13, v6
	v_fma_f16 v17, -v21, v13, v17
	v_fma_f16 v6, v18, v13, -v6
	v_fma_f16 v12, -v14, v18, v12
	v_fma_f16 v13, v21, v14, v22
	v_fma_f16 v17, v14, v18, v17
	v_fma_f16 v6, v21, v14, v6
	v_pack_b32_f16 v12, v12, v13
	v_pack_b32_f16 v6, v17, v6
	ds_write_b32 v25, v12 offset:312
	ds_write_b32 v11, v6 offset:1872
	ds_read_b32 v6, v25 offset:468
	ds_read_b32 v12, v11 offset:1716
	s_waitcnt vmcnt(3)
	v_lshrrev_b32_e32 v13, 16, v15
	s_waitcnt lgkmcnt(0)
	v_add_f16_e32 v14, v6, v12
	v_add_f16_sdwa v17, v12, v6 dst_sel:DWORD dst_unused:UNUSED_PAD src0_sel:WORD_1 src1_sel:WORD_1
	v_sub_f16_e32 v18, v6, v12
	v_sub_f16_sdwa v6, v6, v12 dst_sel:DWORD dst_unused:UNUSED_PAD src0_sel:WORD_1 src1_sel:WORD_1
	;; [unrolled: 21-line block ×4, first 2 shown]
	v_fma_f16 v12, v16, v13, v14
	v_fma_f16 v17, v15, v13, v6
	v_fma_f16 v14, -v16, v13, v14
	v_fma_f16 v6, v15, v13, -v6
	v_fma_f16 v12, -v19, v15, v12
	v_fma_f16 v13, v16, v19, v17
	v_fma_f16 v14, v19, v15, v14
	;; [unrolled: 1-line block ×3, first 2 shown]
	v_pack_b32_f16 v12, v12, v13
	v_pack_b32_f16 v6, v14, v6
	ds_write_b32 v25, v12 offset:780
	ds_write_b32 v11, v6 offset:1404
	ds_read_b32 v12, v25 offset:936
	ds_read_b32 v13, v11 offset:1248
	s_waitcnt vmcnt(0)
	v_lshrrev_b32_e32 v14, 16, v20
	v_add_u32_e32 v6, v27, v26
	v_add_u32_e32 v22, 0x400, v6
	s_waitcnt lgkmcnt(0)
	v_add_f16_e32 v15, v12, v13
	v_add_f16_sdwa v16, v13, v12 dst_sel:DWORD dst_unused:UNUSED_PAD src0_sel:WORD_1 src1_sel:WORD_1
	v_sub_f16_e32 v17, v12, v13
	v_sub_f16_sdwa v12, v12, v13 dst_sel:DWORD dst_unused:UNUSED_PAD src0_sel:WORD_1 src1_sel:WORD_1
	v_fma_f16 v13, v17, v14, v15
	v_fma_f16 v18, v16, v14, v12
	v_fma_f16 v15, -v17, v14, v15
	v_fma_f16 v12, v16, v14, -v12
	v_fma_f16 v13, -v20, v16, v13
	v_fma_f16 v14, v17, v20, v18
	v_fma_f16 v15, v20, v16, v15
	;; [unrolled: 1-line block ×3, first 2 shown]
	v_pack_b32_f16 v13, v13, v14
	v_pack_b32_f16 v12, v15, v12
	ds_write_b32 v25, v13 offset:936
	ds_write_b32 v11, v12 offset:1248
	s_waitcnt lgkmcnt(0)
	s_barrier
	s_barrier
	ds_read2_b32 v[11:12], v6 offset0:39 offset1:42
	ds_read2_b32 v[13:14], v6 offset0:81 offset1:84
	;; [unrolled: 1-line block ×6, first 2 shown]
	ds_read_b32 v17, v25
	ds_read_b32 v41, v6 offset:2172
	s_waitcnt lgkmcnt(6)
	v_pk_add_f16 v15, v11, v13
	s_waitcnt lgkmcnt(4)
	v_pk_add_f16 v23, v15, v18
	;; [unrolled: 2-line block ×3, first 2 shown]
	v_pk_add_f16 v15, v18, v33 neg_lo:[0,1] neg_hi:[0,1]
	s_waitcnt lgkmcnt(1)
	v_pk_add_f16 v18, v17, v12
	v_pk_add_f16 v18, v18, v14
	;; [unrolled: 1-line block ×4, first 2 shown]
	v_pk_add_f16 v43, v19, v21 neg_lo:[0,1] neg_hi:[0,1]
	ds_read2_b32 v[18:19], v6 offset0:207 offset1:210
	v_pk_add_f16 v23, v23, v31
	ds_read2_b32 v[35:36], v6 offset0:249 offset1:252
	ds_read2_b32 v[29:30], v22 offset0:35 offset1:38
	;; [unrolled: 1-line block ×4, first 2 shown]
	s_waitcnt lgkmcnt(4)
	v_pk_add_f16 v23, v23, v18
	s_waitcnt lgkmcnt(3)
	v_pk_add_f16 v23, v23, v35
	;; [unrolled: 2-line block ×5, first 2 shown]
	v_pk_add_f16 v44, v23, v20
	v_pk_add_f16 v23, v28, v32
	;; [unrolled: 1-line block ×9, first 2 shown]
	v_pk_add_f16 v38, v19, v38 neg_lo:[0,1] neg_hi:[0,1]
	v_pk_add_f16 v23, v37, v29
	v_pk_add_f16 v19, v29, v37 neg_lo:[0,1] neg_hi:[0,1]
	v_pk_add_f16 v47, v30, v36
	v_pk_add_f16 v48, v36, v30 neg_lo:[0,1] neg_hi:[0,1]
	ds_read2_b32 v[36:37], v22 offset0:203 offset1:206
	v_pk_add_f16 v28, v20, v18
	v_pk_add_f16 v18, v18, v20 neg_lo:[0,1] neg_hi:[0,1]
	v_pk_add_f16 v29, v39, v35
	v_pk_add_f16 v20, v35, v39 neg_lo:[0,1] neg_hi:[0,1]
	s_waitcnt lgkmcnt(0)
	v_pk_add_f16 v30, v36, v31
	v_pk_add_f16 v21, v31, v36 neg_lo:[0,1] neg_hi:[0,1]
	v_pk_add_f16 v31, v44, v36
	v_pk_add_f16 v31, v31, v33
	;; [unrolled: 1-line block ×4, first 2 shown]
	v_pk_add_f16 v12, v12, v34 neg_lo:[0,1] neg_hi:[0,1]
	v_pk_add_f16 v33, v33, v34
	v_pk_add_f16 v34, v37, v14
	v_pk_add_f16 v14, v14, v37 neg_lo:[0,1] neg_hi:[0,1]
	v_pk_mul_f16 v37, v12, s25 op_sel_hi:[1,0]
	v_pk_fma_f16 v39, v36, s15, v37 op_sel:[0,0,1] op_sel_hi:[1,0,0]
	v_pk_fma_f16 v37, v36, s15, v37 op_sel:[0,0,1] op_sel_hi:[1,0,0] neg_lo:[0,0,1] neg_hi:[0,0,1]
	v_pk_mul_f16 v44, v14, s19 op_sel_hi:[1,0]
	v_pk_add_f16 v35, v40, v32
	v_pk_add_f16 v32, v32, v40 neg_lo:[0,1] neg_hi:[0,1]
	v_bfi_b32 v40, s6, v39, v37
	v_pk_fma_f16 v45, v34, s8, v44 op_sel:[0,0,1] op_sel_hi:[1,0,0]
	v_pk_fma_f16 v49, v34, s8, v44 op_sel:[0,0,1] op_sel_hi:[1,0,0] neg_lo:[0,0,1] neg_hi:[0,0,1]
	v_pk_add_f16 v40, v17, v40
	v_bfi_b32 v44, s6, v45, v49
	v_pk_add_f16 v40, v44, v40
	v_pk_mul_f16 v44, v43, s23 op_sel_hi:[1,0]
	v_pk_fma_f16 v50, v42, s14, v44 op_sel:[0,0,1] op_sel_hi:[1,0,0]
	v_pk_fma_f16 v51, v42, s14, v44 op_sel:[0,0,1] op_sel_hi:[1,0,0] neg_lo:[0,0,1] neg_hi:[0,0,1]
	v_bfi_b32 v44, s6, v50, v51
	v_pk_add_f16 v40, v44, v40
	v_pk_mul_f16 v44, v32, s7 op_sel_hi:[1,0]
	v_pk_fma_f16 v52, v35, s17, v44 op_sel:[0,0,1] op_sel_hi:[1,0,0]
	v_pk_fma_f16 v53, v35, s17, v44 op_sel:[0,0,1] op_sel_hi:[1,0,0] neg_lo:[0,0,1] neg_hi:[0,0,1]
	;; [unrolled: 5-line block ×4, first 2 shown]
	v_bfi_b32 v44, s6, v56, v57
	v_pk_add_f16 v40, v44, v40
	v_mul_u32_u24_e32 v44, 52, v5
	v_add3_u32 v58, 0, v44, v26
	s_barrier
	ds_write2_b32 v58, v33, v40 offset1:1
	v_mul_f16_sdwa v33, v12, s19 dst_sel:DWORD dst_unused:UNUSED_PAD src0_sel:WORD_1 src1_sel:DWORD
	v_fma_f16 v40, v36, s8, v33
	v_mul_f16_sdwa v44, v14, s7 dst_sel:DWORD dst_unused:UNUSED_PAD src0_sel:WORD_1 src1_sel:DWORD
	v_add_f16_e32 v40, v17, v40
	v_fma_f16 v59, v34, s17, v44
	v_add_f16_e32 v40, v59, v40
	v_mul_f16_sdwa v59, v36, s8 dst_sel:DWORD dst_unused:UNUSED_PAD src0_sel:WORD_1 src1_sel:DWORD
	v_fma_f16 v60, v12, s21, v59
	v_mul_f16_sdwa v61, v34, s17 dst_sel:DWORD dst_unused:UNUSED_PAD src0_sel:WORD_1 src1_sel:DWORD
	v_add_f16_sdwa v60, v17, v60 dst_sel:DWORD dst_unused:UNUSED_PAD src0_sel:WORD_1 src1_sel:DWORD
	v_fma_f16 v62, v14, s26, v61
	v_add_f16_e32 v60, v62, v60
	v_mul_f16_sdwa v62, v12, s23 dst_sel:DWORD dst_unused:UNUSED_PAD src0_sel:WORD_1 src1_sel:DWORD
	v_fma_f16 v63, v36, s14, v62
	v_mul_f16_sdwa v64, v14, s16 dst_sel:DWORD dst_unused:UNUSED_PAD src0_sel:WORD_1 src1_sel:DWORD
	v_add_f16_e32 v63, v17, v63
	v_fma_f16 v65, v34, s20, v64
	v_add_f16_e32 v63, v65, v63
	v_mul_f16_sdwa v65, v36, s14 dst_sel:DWORD dst_unused:UNUSED_PAD src0_sel:WORD_1 src1_sel:DWORD
	v_fma_f16 v66, v12, s22, v65
	v_mul_f16_sdwa v67, v34, s20 dst_sel:DWORD dst_unused:UNUSED_PAD src0_sel:WORD_1 src1_sel:DWORD
	v_add_f16_sdwa v66, v17, v66 dst_sel:DWORD dst_unused:UNUSED_PAD src0_sel:WORD_1 src1_sel:DWORD
	v_fma_f16 v68, v14, s28, v67
	v_add_f16_e32 v66, v68, v66
	v_mul_f16_sdwa v68, v43, s16 dst_sel:DWORD dst_unused:UNUSED_PAD src0_sel:WORD_1 src1_sel:DWORD
	v_fma_f16 v69, v42, s20, v68
	v_add_f16_e32 v40, v69, v40
	v_mul_f16_sdwa v69, v42, s20 dst_sel:DWORD dst_unused:UNUSED_PAD src0_sel:WORD_1 src1_sel:DWORD
	;; [unrolled: 3-line block ×16, first 2 shown]
	v_fma_f16 v84, v48, s27, v83
	v_add_f16_e32 v66, v84, v66
	v_pack_b32_f16 v63, v63, v66
	v_pack_b32_f16 v40, v40, v60
	ds_write2_b32 v58, v40, v63 offset0:2 offset1:3
	v_mul_f16_sdwa v40, v12, s7 dst_sel:DWORD dst_unused:UNUSED_PAD src0_sel:WORD_1 src1_sel:DWORD
	v_fma_f16 v60, v36, s17, v40
	v_mul_f16_sdwa v63, v14, s27 dst_sel:DWORD dst_unused:UNUSED_PAD src0_sel:WORD_1 src1_sel:DWORD
	v_add_f16_e32 v60, v17, v60
	v_fma_f16 v66, v34, s18, v63
	v_add_f16_e32 v60, v66, v60
	v_mul_f16_sdwa v66, v36, s17 dst_sel:DWORD dst_unused:UNUSED_PAD src0_sel:WORD_1 src1_sel:DWORD
	v_fma_f16 v84, v12, s26, v66
	v_mul_f16_sdwa v85, v34, s18 dst_sel:DWORD dst_unused:UNUSED_PAD src0_sel:WORD_1 src1_sel:DWORD
	v_add_f16_sdwa v84, v17, v84 dst_sel:DWORD dst_unused:UNUSED_PAD src0_sel:WORD_1 src1_sel:DWORD
	v_fma_f16 v86, v14, s9, v85
	v_add_f16_e32 v84, v86, v84
	v_mul_f16_sdwa v86, v12, s9 dst_sel:DWORD dst_unused:UNUSED_PAD src0_sel:WORD_1 src1_sel:DWORD
	v_fma_f16 v87, v36, s18, v86
	v_mul_f16_sdwa v88, v14, s22 dst_sel:DWORD dst_unused:UNUSED_PAD src0_sel:WORD_1 src1_sel:DWORD
	v_add_f16_e32 v87, v17, v87
	v_fma_f16 v89, v34, s14, v88
	v_add_f16_e32 v87, v89, v87
	v_mul_f16_sdwa v89, v36, s18 dst_sel:DWORD dst_unused:UNUSED_PAD src0_sel:WORD_1 src1_sel:DWORD
	v_fma_f16 v90, v12, s27, v89
	v_mul_f16_sdwa v91, v34, s14 dst_sel:DWORD dst_unused:UNUSED_PAD src0_sel:WORD_1 src1_sel:DWORD
	v_add_f16_sdwa v90, v17, v90 dst_sel:DWORD dst_unused:UNUSED_PAD src0_sel:WORD_1 src1_sel:DWORD
	v_fma_f16 v92, v14, s23, v91
	v_add_f16_e32 v90, v92, v90
	v_mul_f16_sdwa v92, v43, s24 dst_sel:DWORD dst_unused:UNUSED_PAD src0_sel:WORD_1 src1_sel:DWORD
	v_fma_f16 v93, v42, s15, v92
	v_add_f16_e32 v60, v93, v60
	v_mul_f16_sdwa v93, v42, s15 dst_sel:DWORD dst_unused:UNUSED_PAD src0_sel:WORD_1 src1_sel:DWORD
	;; [unrolled: 3-line block ×16, first 2 shown]
	v_fma_f16 v108, v48, s26, v107
	v_add_f16_e32 v90, v108, v90
	v_pack_b32_f16 v87, v87, v90
	v_pack_b32_f16 v60, v60, v84
	ds_write2_b32 v58, v60, v87 offset0:4 offset1:5
	v_pk_mul_f16 v60, v36, s20 op_sel_hi:[1,0]
	v_pk_fma_f16 v84, v12, s16, v60 op_sel:[0,0,1] op_sel_hi:[1,0,0]
	v_pk_mul_f16 v90, v34, s15 op_sel_hi:[1,0]
	v_pk_fma_f16 v60, v12, s16, v60 op_sel:[0,0,1] op_sel_hi:[1,0,0] neg_lo:[1,0,0] neg_hi:[1,0,0]
	v_alignbit_b32 v87, s0, v17, 16
	v_pk_fma_f16 v108, v14, s24, v90 op_sel:[0,0,1] op_sel_hi:[1,0,0]
	v_pk_add_f16 v60, v17, v60 op_sel:[1,0] op_sel_hi:[0,1]
	v_pk_fma_f16 v90, v14, s24, v90 op_sel:[0,0,1] op_sel_hi:[1,0,0] neg_lo:[1,0,0] neg_hi:[1,0,0]
	v_pk_add_f16 v87, v87, v84
	v_pk_add_f16 v60, v90, v60
	v_pk_mul_f16 v90, v42, s18 op_sel_hi:[1,0]
	v_alignbit_b32 v84, s0, v84, 16
	v_alignbit_b32 v109, s0, v108, 16
	v_pk_add_f16 v87, v108, v87
	v_pk_fma_f16 v108, v43, s9, v90 op_sel:[0,0,1] op_sel_hi:[1,0,0]
	v_pk_fma_f16 v90, v43, s9, v90 op_sel:[0,0,1] op_sel_hi:[1,0,0] neg_lo:[1,0,0] neg_hi:[1,0,0]
	v_pk_add_f16 v84, v17, v84
	v_pk_add_f16 v60, v90, v60
	v_pk_mul_f16 v90, v35, s8 op_sel_hi:[1,0]
	v_pk_add_f16 v84, v109, v84
	v_alignbit_b32 v109, s0, v108, 16
	v_pk_add_f16 v87, v108, v87
	v_pk_fma_f16 v108, v32, s21, v90 op_sel:[0,0,1] op_sel_hi:[1,0,0]
	v_pk_fma_f16 v90, v32, s21, v90 op_sel:[0,0,1] op_sel_hi:[1,0,0] neg_lo:[1,0,0] neg_hi:[1,0,0]
	v_pk_add_f16 v60, v90, v60
	v_pk_mul_f16 v90, v46, s17 op_sel_hi:[1,0]
	v_pk_add_f16 v84, v109, v84
	v_alignbit_b32 v109, s0, v108, 16
	v_pk_add_f16 v87, v108, v87
	v_pk_fma_f16 v108, v38, s7, v90 op_sel:[0,0,1] op_sel_hi:[1,0,0]
	v_pk_fma_f16 v90, v38, s7, v90 op_sel:[0,0,1] op_sel_hi:[1,0,0] neg_lo:[1,0,0] neg_hi:[1,0,0]
	v_pk_add_f16 v60, v90, v60
	v_pk_mul_f16 v90, v47, s14 op_sel_hi:[1,0]
	v_pk_add_f16 v84, v109, v84
	v_alignbit_b32 v109, s0, v108, 16
	v_pk_add_f16 v87, v108, v87
	v_pk_fma_f16 v108, v48, s22, v90 op_sel:[0,0,1] op_sel_hi:[1,0,0]
	v_pk_add_f16 v84, v109, v84
	v_alignbit_b32 v109, s0, v108, 16
	v_pk_fma_f16 v90, v48, s22, v90 op_sel:[0,0,1] op_sel_hi:[1,0,0] neg_lo:[1,0,0] neg_hi:[1,0,0]
	v_pk_add_f16 v84, v109, v84
	v_pk_add_f16 v60, v90, v60
	;; [unrolled: 1-line block ×3, first 2 shown]
	v_alignbit_b32 v87, v87, v60, 16
	v_pack_b32_f16 v60, v84, v60
	v_fma_f16 v40, v36, s17, -v40
	ds_write2_b32 v58, v60, v87 offset0:6 offset1:7
	v_add_f16_e32 v40, v17, v40
	v_fma_f16 v60, v34, s18, -v63
	v_add_f16_e32 v40, v60, v40
	v_fma_f16 v60, v12, s7, v66
	v_add_f16_sdwa v60, v17, v60 dst_sel:DWORD dst_unused:UNUSED_PAD src0_sel:WORD_1 src1_sel:DWORD
	v_fma_f16 v63, v14, s27, v85
	v_add_f16_e32 v60, v63, v60
	v_fma_f16 v63, v36, s18, -v86
	v_add_f16_e32 v63, v17, v63
	v_fma_f16 v66, v34, s14, -v88
	v_add_f16_e32 v63, v66, v63
	v_fma_f16 v66, v12, s9, v89
	v_add_f16_sdwa v66, v17, v66 dst_sel:DWORD dst_unused:UNUSED_PAD src0_sel:WORD_1 src1_sel:DWORD
	v_fma_f16 v84, v14, s22, v91
	v_add_f16_e32 v66, v84, v66
	v_fma_f16 v84, v42, s15, -v92
	v_add_f16_e32 v40, v84, v40
	v_fma_f16 v84, v43, s24, v93
	v_add_f16_e32 v60, v84, v60
	v_fma_f16 v84, v42, s8, -v94
	v_add_f16_e32 v63, v84, v63
	;; [unrolled: 4-line block ×8, first 2 shown]
	v_fma_f16 v84, v48, s7, v107
	v_add_f16_e32 v66, v84, v66
	v_pack_b32_f16 v40, v40, v60
	v_pack_b32_f16 v60, v63, v66
	v_fma_f16 v33, v36, s8, -v33
	v_fma_f16 v36, v36, s14, -v62
	ds_write2_b32 v58, v60, v40 offset0:8 offset1:9
	v_fma_f16 v40, v12, s19, v59
	v_fma_f16 v12, v12, s23, v65
	v_add_f16_e32 v33, v17, v33
	v_fma_f16 v44, v34, s17, -v44
	v_fma_f16 v34, v34, s20, -v64
	v_add_f16_e32 v36, v17, v36
	v_add_f16_e32 v33, v44, v33
	v_fma_f16 v44, v14, s7, v61
	v_add_f16_e32 v34, v34, v36
	v_fma_f16 v14, v14, s16, v67
	v_add_f16_sdwa v12, v17, v12 dst_sel:DWORD dst_unused:UNUSED_PAD src0_sel:WORD_1 src1_sel:DWORD
	v_fma_f16 v36, v42, s17, -v70
	v_add_f16_e32 v12, v14, v12
	v_fma_f16 v14, v42, s20, -v68
	v_add_f16_e32 v34, v36, v34
	v_fma_f16 v36, v43, s26, v71
	v_add_f16_sdwa v40, v17, v40 dst_sel:DWORD dst_unused:UNUSED_PAD src0_sel:WORD_1 src1_sel:DWORD
	v_add_f16_e32 v14, v14, v33
	v_add_f16_e32 v12, v36, v12
	v_fma_f16 v36, v35, s18, -v72
	v_add_f16_e32 v40, v44, v40
	v_fma_f16 v33, v43, s16, v69
	v_add_f16_e32 v14, v36, v14
	v_fma_f16 v36, v32, s27, v73
	v_fma_f16 v32, v32, s24, v75
	v_add_f16_e32 v33, v33, v40
	v_add_f16_e32 v12, v32, v12
	v_fma_f16 v32, v46, s14, -v76
	v_add_f16_e32 v33, v36, v33
	v_fma_f16 v35, v35, s15, -v74
	v_add_f16_e32 v14, v32, v14
	v_fma_f16 v32, v38, s22, v77
	v_add_f16_e32 v34, v35, v34
	v_add_f16_e32 v32, v32, v33
	v_fma_f16 v33, v46, s8, -v78
	v_add_f16_e32 v33, v33, v34
	v_fma_f16 v34, v38, s19, v79
	v_add_f16_e32 v12, v34, v12
	v_fma_f16 v34, v47, s15, -v80
	v_add_f16_e32 v14, v34, v14
	v_fma_f16 v34, v48, s24, v81
	;; [unrolled: 4-line block ×3, first 2 shown]
	v_add_f16_e32 v12, v34, v12
	v_pack_b32_f16 v14, v14, v32
	v_pack_b32_f16 v12, v33, v12
	ds_write2_b32 v58, v12, v14 offset0:10 offset1:11
	v_bfi_b32 v12, s6, v37, v39
	v_pk_add_f16 v44, v41, v13
	v_pk_add_f16 v35, v13, v41 neg_lo:[0,1] neg_hi:[0,1]
	v_pk_add_f16 v12, v17, v12
	v_bfi_b32 v13, s6, v49, v45
	v_pk_add_f16 v12, v13, v12
	v_bfi_b32 v13, s6, v51, v50
	;; [unrolled: 2-line block ×5, first 2 shown]
	v_pk_mul_f16 v17, v35, s25 op_sel_hi:[1,0]
	v_pk_add_f16 v12, v14, v12
	v_pk_fma_f16 v14, v44, s15, v17 op_sel:[0,0,1] op_sel_hi:[1,0,0] neg_lo:[0,0,1] neg_hi:[0,0,1]
	v_pk_fma_f16 v17, v44, s15, v17 op_sel:[0,0,1] op_sel_hi:[1,0,0]
	v_pk_mul_f16 v32, v15, s19 op_sel_hi:[1,0]
	v_pk_add_f16 v13, v31, v41
	v_bfi_b32 v31, s6, v17, v14
	v_pk_fma_f16 v33, v16, s8, v32 op_sel:[0,0,1] op_sel_hi:[1,0,0] neg_lo:[0,0,1] neg_hi:[0,0,1]
	v_pk_fma_f16 v34, v16, s8, v32 op_sel:[0,0,1] op_sel_hi:[1,0,0]
	v_pk_add_f16 v31, v11, v31
	v_bfi_b32 v32, s6, v34, v33
	v_pk_add_f16 v31, v32, v31
	v_pk_mul_f16 v32, v21, s23 op_sel_hi:[1,0]
	v_pk_fma_f16 v36, v30, s14, v32 op_sel:[0,0,1] op_sel_hi:[1,0,0] neg_lo:[0,0,1] neg_hi:[0,0,1]
	v_pk_fma_f16 v37, v30, s14, v32 op_sel:[0,0,1] op_sel_hi:[1,0,0]
	v_bfi_b32 v32, s6, v37, v36
	v_pk_add_f16 v31, v32, v31
	v_pk_mul_f16 v32, v18, s7 op_sel_hi:[1,0]
	v_pk_fma_f16 v38, v28, s17, v32 op_sel:[0,0,1] op_sel_hi:[1,0,0] neg_lo:[0,0,1] neg_hi:[0,0,1]
	v_pk_fma_f16 v39, v28, s17, v32 op_sel:[0,0,1] op_sel_hi:[1,0,0]
	;; [unrolled: 5-line block ×4, first 2 shown]
	v_bfi_b32 v32, s6, v43, v42
	v_pk_add_f16 v31, v32, v31
	v_cmp_gt_u32_e64 s[0:1], 3, v5
	v_add_u32_e32 v32, 39, v5
	ds_write_b32 v58, v12 offset:48
	s_and_saveexec_b64 s[4:5], s[0:1]
	s_cbranch_execz .LBB0_20
; %bb.19:
	v_mul_f16_sdwa v45, v44, s18 dst_sel:DWORD dst_unused:UNUSED_PAD src0_sel:WORD_1 src1_sel:DWORD
	v_fma_f16 v46, v35, s27, v45
	v_mul_f16_sdwa v47, v16, s14 dst_sel:DWORD dst_unused:UNUSED_PAD src0_sel:WORD_1 src1_sel:DWORD
	v_add_f16_sdwa v46, v11, v46 dst_sel:DWORD dst_unused:UNUSED_PAD src0_sel:WORD_1 src1_sel:DWORD
	v_fma_f16 v48, v15, s23, v47
	v_add_f16_e32 v46, v48, v46
	v_mul_f16_sdwa v48, v30, s8 dst_sel:DWORD dst_unused:UNUSED_PAD src0_sel:WORD_1 src1_sel:DWORD
	v_fma_f16 v49, v21, s21, v48
	v_add_f16_e32 v46, v49, v46
	v_mul_f16_sdwa v49, v28, s20 dst_sel:DWORD dst_unused:UNUSED_PAD src0_sel:WORD_1 src1_sel:DWORD
	;; [unrolled: 3-line block ×5, first 2 shown]
	v_fma_f16 v53, v44, s18, v52
	v_mul_f16_sdwa v54, v15, s22 dst_sel:DWORD dst_unused:UNUSED_PAD src0_sel:WORD_1 src1_sel:DWORD
	v_add_f16_e32 v53, v11, v53
	v_fma_f16 v55, v16, s14, v54
	v_add_f16_e32 v53, v55, v53
	v_mul_f16_sdwa v55, v21, s19 dst_sel:DWORD dst_unused:UNUSED_PAD src0_sel:WORD_1 src1_sel:DWORD
	v_fma_f16 v56, v30, s8, v55
	v_add_f16_e32 v53, v56, v53
	v_mul_f16_sdwa v56, v18, s28 dst_sel:DWORD dst_unused:UNUSED_PAD src0_sel:WORD_1 src1_sel:DWORD
	;; [unrolled: 3-line block ×5, first 2 shown]
	v_fma_f16 v60, v35, s26, v59
	v_mul_f16_sdwa v61, v16, s18 dst_sel:DWORD dst_unused:UNUSED_PAD src0_sel:WORD_1 src1_sel:DWORD
	v_add_f16_sdwa v60, v11, v60 dst_sel:DWORD dst_unused:UNUSED_PAD src0_sel:WORD_1 src1_sel:DWORD
	v_fma_f16 v62, v15, s9, v61
	v_add_f16_e32 v60, v62, v60
	v_mul_f16_sdwa v62, v30, s15 dst_sel:DWORD dst_unused:UNUSED_PAD src0_sel:WORD_1 src1_sel:DWORD
	v_fma_f16 v63, v21, s25, v62
	v_add_f16_e32 v60, v63, v60
	v_mul_f16_sdwa v63, v28, s14 dst_sel:DWORD dst_unused:UNUSED_PAD src0_sel:WORD_1 src1_sel:DWORD
	;; [unrolled: 3-line block ×5, first 2 shown]
	v_fma_f16 v67, v44, s17, v66
	v_mul_f16_sdwa v68, v15, s27 dst_sel:DWORD dst_unused:UNUSED_PAD src0_sel:WORD_1 src1_sel:DWORD
	v_add_f16_e32 v67, v11, v67
	v_fma_f16 v69, v16, s18, v68
	v_add_f16_e32 v67, v69, v67
	v_mul_f16_sdwa v69, v21, s24 dst_sel:DWORD dst_unused:UNUSED_PAD src0_sel:WORD_1 src1_sel:DWORD
	v_fma_f16 v70, v30, s15, v69
	v_add_f16_e32 v67, v70, v67
	v_mul_f16_sdwa v70, v18, s23 dst_sel:DWORD dst_unused:UNUSED_PAD src0_sel:WORD_1 src1_sel:DWORD
	;; [unrolled: 3-line block ×3, first 2 shown]
	v_fma_f16 v45, v35, s9, v45
	v_fma_f16 v72, v29, s20, v71
	v_add_f16_sdwa v45, v11, v45 dst_sel:DWORD dst_unused:UNUSED_PAD src0_sel:WORD_1 src1_sel:DWORD
	v_fma_f16 v47, v15, s22, v47
	v_add_f16_e32 v67, v72, v67
	v_mul_f16_sdwa v72, v19, s21 dst_sel:DWORD dst_unused:UNUSED_PAD src0_sel:WORD_1 src1_sel:DWORD
	v_add_f16_e32 v45, v47, v45
	v_fma_f16 v47, v21, s19, v48
	v_fma_f16 v73, v23, s8, v72
	v_add_f16_e32 v45, v47, v45
	v_fma_f16 v47, v18, s28, v49
	v_add_f16_e32 v67, v73, v67
	v_mul_f16_sdwa v73, v44, s14 dst_sel:DWORD dst_unused:UNUSED_PAD src0_sel:WORD_1 src1_sel:DWORD
	v_add_f16_e32 v45, v47, v45
	v_fma_f16 v47, v20, s24, v50
	v_fma_f16 v74, v35, s22, v73
	v_mul_f16_sdwa v75, v16, s20 dst_sel:DWORD dst_unused:UNUSED_PAD src0_sel:WORD_1 src1_sel:DWORD
	v_add_f16_e32 v45, v47, v45
	v_fma_f16 v47, v19, s7, v51
	v_add_f16_sdwa v74, v11, v74 dst_sel:DWORD dst_unused:UNUSED_PAD src0_sel:WORD_1 src1_sel:DWORD
	v_fma_f16 v76, v15, s28, v75
	v_add_f16_e32 v45, v47, v45
	v_fma_f16 v47, v44, s18, -v52
	v_add_f16_e32 v74, v76, v74
	v_mul_f16_sdwa v76, v30, s17 dst_sel:DWORD dst_unused:UNUSED_PAD src0_sel:WORD_1 src1_sel:DWORD
	v_add_f16_e32 v47, v11, v47
	v_fma_f16 v48, v16, s14, -v54
	v_fma_f16 v77, v21, s7, v76
	v_add_f16_e32 v47, v48, v47
	v_fma_f16 v48, v30, s8, -v55
	v_add_f16_e32 v74, v77, v74
	v_mul_f16_sdwa v77, v28, s15 dst_sel:DWORD dst_unused:UNUSED_PAD src0_sel:WORD_1 src1_sel:DWORD
	v_add_f16_e32 v47, v48, v47
	v_fma_f16 v48, v28, s20, -v56
	;; [unrolled: 7-line block ×3, first 2 shown]
	v_fma_f16 v79, v20, s21, v78
	v_add_f16_e32 v47, v48, v47
	v_fma_f16 v48, v35, s7, v59
	v_add_f16_e32 v74, v79, v74
	v_mul_f16_sdwa v79, v23, s18 dst_sel:DWORD dst_unused:UNUSED_PAD src0_sel:WORD_1 src1_sel:DWORD
	v_add_f16_sdwa v48, v11, v48 dst_sel:DWORD dst_unused:UNUSED_PAD src0_sel:WORD_1 src1_sel:DWORD
	v_fma_f16 v49, v15, s27, v61
	v_fma_f16 v80, v19, s27, v79
	v_add_f16_e32 v48, v49, v48
	v_fma_f16 v49, v21, s24, v62
	v_add_f16_e32 v74, v80, v74
	v_mul_f16_sdwa v80, v35, s23 dst_sel:DWORD dst_unused:UNUSED_PAD src0_sel:WORD_1 src1_sel:DWORD
	v_add_f16_e32 v48, v49, v48
	v_fma_f16 v49, v18, s23, v63
	v_fma_f16 v81, v44, s14, v80
	v_mul_f16_sdwa v82, v15, s16 dst_sel:DWORD dst_unused:UNUSED_PAD src0_sel:WORD_1 src1_sel:DWORD
	v_add_f16_e32 v48, v49, v48
	v_fma_f16 v49, v20, s28, v64
	v_add_f16_e32 v81, v11, v81
	v_fma_f16 v83, v16, s20, v82
	;; [unrolled: 2-line block ×3, first 2 shown]
	v_add_f16_e32 v81, v83, v81
	v_mul_f16_sdwa v83, v21, s26 dst_sel:DWORD dst_unused:UNUSED_PAD src0_sel:WORD_1 src1_sel:DWORD
	v_add_f16_e32 v48, v49, v48
	v_fma_f16 v49, v44, s17, -v66
	v_fma_f16 v84, v30, s17, v83
	v_add_f16_e32 v49, v11, v49
	v_fma_f16 v50, v16, s18, -v68
	v_add_f16_e32 v81, v84, v81
	v_mul_f16_sdwa v84, v18, s24 dst_sel:DWORD dst_unused:UNUSED_PAD src0_sel:WORD_1 src1_sel:DWORD
	v_add_f16_e32 v49, v50, v49
	v_fma_f16 v50, v30, s15, -v69
	v_fma_f16 v85, v28, s15, v84
	v_add_f16_e32 v49, v50, v49
	v_fma_f16 v50, v28, s14, -v70
	;; [unrolled: 7-line block ×3, first 2 shown]
	v_add_f16_e32 v81, v86, v81
	v_mul_f16_sdwa v86, v19, s9 dst_sel:DWORD dst_unused:UNUSED_PAD src0_sel:WORD_1 src1_sel:DWORD
	v_add_f16_e32 v49, v50, v49
	v_fma_f16 v50, v35, s23, v73
	v_fma_f16 v87, v23, s18, v86
	v_add_f16_sdwa v50, v11, v50 dst_sel:DWORD dst_unused:UNUSED_PAD src0_sel:WORD_1 src1_sel:DWORD
	v_fma_f16 v51, v15, s16, v75
	v_add_f16_e32 v81, v87, v81
	v_mul_f16_sdwa v87, v44, s8 dst_sel:DWORD dst_unused:UNUSED_PAD src0_sel:WORD_1 src1_sel:DWORD
	v_add_f16_e32 v50, v51, v50
	v_fma_f16 v51, v21, s26, v76
	v_fma_f16 v88, v35, s21, v87
	v_mul_f16_sdwa v89, v16, s17 dst_sel:DWORD dst_unused:UNUSED_PAD src0_sel:WORD_1 src1_sel:DWORD
	v_add_f16_e32 v50, v51, v50
	v_fma_f16 v51, v18, s24, v77
	v_add_f16_sdwa v88, v11, v88 dst_sel:DWORD dst_unused:UNUSED_PAD src0_sel:WORD_1 src1_sel:DWORD
	v_fma_f16 v90, v15, s26, v89
	v_add_f16_e32 v50, v51, v50
	v_fma_f16 v51, v20, s19, v78
	v_add_f16_e32 v88, v90, v88
	v_mul_f16_sdwa v90, v30, s20 dst_sel:DWORD dst_unused:UNUSED_PAD src0_sel:WORD_1 src1_sel:DWORD
	v_add_f16_e32 v50, v51, v50
	v_fma_f16 v51, v19, s9, v79
	v_fma_f16 v91, v21, s28, v90
	v_add_f16_e32 v50, v51, v50
	v_fma_f16 v51, v44, s14, -v80
	v_add_f16_e32 v88, v91, v88
	v_mul_f16_sdwa v91, v28, s18 dst_sel:DWORD dst_unused:UNUSED_PAD src0_sel:WORD_1 src1_sel:DWORD
	v_add_f16_e32 v51, v11, v51
	v_fma_f16 v52, v16, s20, -v82
	v_fma_f16 v92, v18, s9, v91
	v_add_f16_e32 v51, v52, v51
	v_fma_f16 v52, v30, s17, -v83
	v_add_f16_e32 v88, v92, v88
	v_mul_f16_sdwa v92, v29, s14 dst_sel:DWORD dst_unused:UNUSED_PAD src0_sel:WORD_1 src1_sel:DWORD
	v_add_f16_e32 v51, v52, v51
	v_fma_f16 v52, v28, s15, -v84
	;; [unrolled: 7-line block ×3, first 2 shown]
	v_fma_f16 v94, v19, s25, v93
	v_add_f16_e32 v51, v52, v51
	v_fma_f16 v52, v35, s19, v87
	v_add_f16_e32 v88, v94, v88
	v_mul_f16_sdwa v94, v35, s19 dst_sel:DWORD dst_unused:UNUSED_PAD src0_sel:WORD_1 src1_sel:DWORD
	v_add_f16_sdwa v52, v11, v52 dst_sel:DWORD dst_unused:UNUSED_PAD src0_sel:WORD_1 src1_sel:DWORD
	v_fma_f16 v54, v15, s7, v89
	v_fma_f16 v95, v44, s8, v94
	v_mul_f16_sdwa v96, v15, s7 dst_sel:DWORD dst_unused:UNUSED_PAD src0_sel:WORD_1 src1_sel:DWORD
	v_add_f16_e32 v52, v54, v52
	v_fma_f16 v54, v21, s16, v90
	v_add_f16_e32 v95, v11, v95
	v_fma_f16 v97, v16, s17, v96
	;; [unrolled: 2-line block ×3, first 2 shown]
	v_add_f16_e32 v95, v97, v95
	v_mul_f16_sdwa v97, v21, s16 dst_sel:DWORD dst_unused:UNUSED_PAD src0_sel:WORD_1 src1_sel:DWORD
	v_add_f16_e32 v52, v54, v52
	v_fma_f16 v54, v20, s22, v92
	v_fma_f16 v98, v30, s20, v97
	v_add_f16_e32 v52, v54, v52
	v_fma_f16 v54, v19, s24, v93
	v_add_f16_e32 v95, v98, v95
	v_mul_f16_sdwa v98, v18, s27 dst_sel:DWORD dst_unused:UNUSED_PAD src0_sel:WORD_1 src1_sel:DWORD
	v_add_f16_e32 v52, v54, v52
	v_fma_f16 v54, v44, s8, -v94
	v_fma_f16 v99, v28, s18, v98
	v_add_f16_e32 v54, v11, v54
	v_fma_f16 v55, v16, s17, -v96
	v_add_f16_e32 v95, v99, v95
	v_mul_f16_sdwa v99, v20, s22 dst_sel:DWORD dst_unused:UNUSED_PAD src0_sel:WORD_1 src1_sel:DWORD
	v_add_f16_e32 v54, v55, v54
	v_fma_f16 v55, v30, s20, -v97
	v_fma_f16 v100, v29, s14, v99
	v_add_f16_e32 v54, v55, v54
	v_fma_f16 v55, v28, s18, -v98
	v_add_f16_e32 v95, v100, v95
	v_mul_f16_sdwa v100, v19, s24 dst_sel:DWORD dst_unused:UNUSED_PAD src0_sel:WORD_1 src1_sel:DWORD
	v_add_f16_e32 v54, v55, v54
	v_fma_f16 v55, v29, s14, -v99
	v_add_f16_e32 v54, v55, v54
	v_fma_f16 v55, v23, s15, -v100
	v_fma_f16 v101, v23, s15, v100
	v_add_f16_e32 v54, v55, v54
	v_mul_u32_u24_e32 v55, 52, v32
	v_add_f16_e32 v95, v101, v95
	v_add3_u32 v55, 0, v55, v26
	v_pack_b32_f16 v46, v53, v46
	v_pack_b32_f16 v53, v67, v60
	v_pk_mul_f16 v44, v44, s20 op_sel_hi:[1,0]
	v_pack_b32_f16 v56, v81, v74
	v_pack_b32_f16 v57, v95, v88
	ds_write2_b32 v55, v53, v46 offset0:4 offset1:5
	v_pk_fma_f16 v46, v35, s16, v44 op_sel:[0,0,1] op_sel_hi:[1,0,0]
	v_pk_mul_f16 v16, v16, s15 op_sel_hi:[1,0]
	ds_write2_b32 v55, v57, v56 offset0:2 offset1:3
	v_alignbit_b32 v53, s0, v46, 16
	v_pk_fma_f16 v56, v15, s24, v16 op_sel:[0,0,1] op_sel_hi:[1,0,0]
	v_pk_add_f16 v53, v11, v53
	v_alignbit_b32 v57, s0, v56, 16
	v_pk_mul_f16 v30, v30, s18 op_sel_hi:[1,0]
	v_pk_add_f16 v53, v57, v53
	v_pk_fma_f16 v57, v21, s9, v30 op_sel:[0,0,1] op_sel_hi:[1,0,0]
	v_alignbit_b32 v58, s0, v57, 16
	v_pk_mul_f16 v28, v28, s8 op_sel_hi:[1,0]
	v_pk_add_f16 v53, v58, v53
	v_pk_fma_f16 v58, v18, s21, v28 op_sel:[0,0,1] op_sel_hi:[1,0,0]
	v_alignbit_b32 v59, s0, v58, 16
	v_pk_mul_f16 v29, v29, s17 op_sel_hi:[1,0]
	v_pk_add_f16 v53, v59, v53
	v_pk_fma_f16 v59, v20, s7, v29 op_sel:[0,0,1] op_sel_hi:[1,0,0]
	v_alignbit_b32 v60, s0, v59, 16
	v_pk_mul_f16 v23, v23, s14 op_sel_hi:[1,0]
	v_pk_add_f16 v53, v60, v53
	v_pk_fma_f16 v60, v19, s22, v23 op_sel:[0,0,1] op_sel_hi:[1,0,0]
	v_alignbit_b32 v61, s0, v60, 16
	v_pk_add_f16 v53, v61, v53
	v_alignbit_b32 v61, s0, v11, 16
	v_pk_fma_f16 v35, v35, s16, v44 op_sel:[0,0,1] op_sel_hi:[1,0,0] neg_lo:[1,0,0] neg_hi:[1,0,0]
	v_pk_add_f16 v46, v61, v46
	v_pk_add_f16 v35, v11, v35 op_sel:[1,0] op_sel_hi:[0,1]
	v_pk_fma_f16 v15, v15, s24, v16 op_sel:[0,0,1] op_sel_hi:[1,0,0] neg_lo:[1,0,0] neg_hi:[1,0,0]
	v_pk_add_f16 v46, v56, v46
	v_pk_add_f16 v15, v15, v35
	v_pk_fma_f16 v16, v21, s9, v30 op_sel:[0,0,1] op_sel_hi:[1,0,0] neg_lo:[1,0,0] neg_hi:[1,0,0]
	v_pk_add_f16 v46, v57, v46
	v_pk_add_f16 v15, v16, v15
	v_pk_fma_f16 v16, v18, s21, v28 op_sel:[0,0,1] op_sel_hi:[1,0,0] neg_lo:[1,0,0] neg_hi:[1,0,0]
	v_bfi_b32 v14, s6, v14, v17
	v_pk_add_f16 v46, v58, v46
	v_pk_add_f16 v15, v16, v15
	v_pk_fma_f16 v16, v20, s7, v29 op_sel:[0,0,1] op_sel_hi:[1,0,0] neg_lo:[1,0,0] neg_hi:[1,0,0]
	v_pk_add_f16 v11, v11, v14
	v_bfi_b32 v14, s6, v33, v34
	v_pk_add_f16 v46, v59, v46
	v_pk_add_f16 v15, v16, v15
	v_pk_fma_f16 v16, v19, s22, v23 op_sel:[0,0,1] op_sel_hi:[1,0,0] neg_lo:[1,0,0] neg_hi:[1,0,0]
	v_pk_add_f16 v11, v14, v11
	v_bfi_b32 v14, s6, v36, v37
	v_pk_add_f16 v46, v60, v46
	v_pk_add_f16 v15, v16, v15
	;; [unrolled: 1-line block ×3, first 2 shown]
	v_bfi_b32 v14, s6, v38, v39
	v_alignbit_b32 v16, v46, v15, 16
	v_pack_b32_f16 v15, v53, v15
	v_pk_add_f16 v11, v14, v11
	v_bfi_b32 v14, s6, v40, v41
	ds_write2_b32 v55, v15, v16 offset0:6 offset1:7
	v_pack_b32_f16 v15, v49, v48
	v_pack_b32_f16 v16, v47, v45
	v_pk_add_f16 v11, v14, v11
	v_bfi_b32 v14, s6, v42, v43
	ds_write2_b32 v55, v16, v15 offset0:8 offset1:9
	v_pack_b32_f16 v15, v54, v52
	v_pack_b32_f16 v16, v51, v50
	v_pk_add_f16 v11, v14, v11
	ds_write2_b32 v55, v13, v31 offset1:1
	ds_write2_b32 v55, v16, v15 offset0:10 offset1:11
	ds_write_b32 v55, v11 offset:48
.LBB0_20:
	s_or_b64 exec, exec, s[4:5]
	v_add_u32_e32 v28, 0x200, v6
	s_waitcnt lgkmcnt(0)
	s_barrier
	ds_read2_b32 v[14:15], v6 offset0:117 offset1:182
	ds_read2_b32 v[18:19], v22 offset0:43 offset1:108
	;; [unrolled: 1-line block ×5, first 2 shown]
	ds_read_b32 v29, v25
	ds_read_b32 v30, v6 offset:1924
	v_cmp_gt_u32_e64 s[0:1], 26, v5
	v_lshrrev_b32_e32 v11, 16, v12
	s_and_saveexec_b64 s[4:5], s[0:1]
	s_cbranch_execz .LBB0_22
; %bb.21:
	ds_read2_b32 v[12:13], v28 offset0:28 offset1:210
	ds_read_b32 v31, v6 offset:2080
	s_waitcnt lgkmcnt(1)
	v_lshrrev_b32_e32 v11, 16, v12
.LBB0_22:
	s_or_b64 exec, exec, s[4:5]
	s_movk_i32 s6, 0x4f
	v_mul_lo_u16_sdwa v34, v32, s6 dst_sel:DWORD dst_unused:UNUSED_PAD src0_sel:BYTE_0 src1_sel:DWORD
	v_mul_lo_u16_sdwa v28, v5, s6 dst_sel:DWORD dst_unused:UNUSED_PAD src0_sel:BYTE_0 src1_sel:DWORD
	v_lshrrev_b16_e32 v42, 10, v34
	v_lshrrev_b16_e32 v40, 10, v28
	v_mul_lo_u16_e32 v34, 13, v42
	v_add_u16_e32 v35, 0x4e, v5
	v_add_u16_e32 v38, 0x75, v5
	v_mul_lo_u16_e32 v28, 13, v40
	v_sub_u16_e32 v43, v32, v34
	v_mul_lo_u16_sdwa v32, v35, s6 dst_sel:DWORD dst_unused:UNUSED_PAD src0_sel:BYTE_0 src1_sel:DWORD
	v_mul_lo_u16_sdwa v37, v38, s6 dst_sel:DWORD dst_unused:UNUSED_PAD src0_sel:BYTE_0 src1_sel:DWORD
	v_sub_u16_e32 v41, v5, v28
	v_mov_b32_e32 v28, 3
	v_lshrrev_b16_e32 v44, 10, v32
	v_lshrrev_b16_e32 v46, 10, v37
	v_lshlrev_b32_sdwa v33, v28, v41 dst_sel:DWORD dst_unused:UNUSED_PAD src0_sel:DWORD src1_sel:BYTE_0
	v_mul_lo_u16_e32 v36, 13, v44
	v_mul_lo_u16_e32 v39, 13, v46
	v_lshlrev_b32_sdwa v34, v28, v43 dst_sel:DWORD dst_unused:UNUSED_PAD src0_sel:DWORD src1_sel:BYTE_0
	global_load_dwordx2 v[32:33], v33, s[12:13]
	v_sub_u16_e32 v45, v35, v36
	global_load_dwordx2 v[34:35], v34, s[12:13]
	v_sub_u16_e32 v47, v38, v39
	v_lshlrev_b32_sdwa v36, v28, v45 dst_sel:DWORD dst_unused:UNUSED_PAD src0_sel:DWORD src1_sel:BYTE_0
	global_load_dwordx2 v[36:37], v36, s[12:13]
	v_lshlrev_b32_sdwa v38, v28, v47 dst_sel:DWORD dst_unused:UNUSED_PAD src0_sel:DWORD src1_sel:BYTE_0
	global_load_dwordx2 v[38:39], v38, s[12:13]
	s_waitcnt lgkmcnt(6)
	v_lshrrev_b32_e32 v53, 16, v15
	s_waitcnt lgkmcnt(5)
	v_lshrrev_b32_e32 v54, 16, v19
	;; [unrolled: 2-line block ×6, first 2 shown]
	v_lshrrev_b32_e32 v57, 16, v21
	v_lshrrev_b32_e32 v58, 16, v23
	s_mov_b32 s7, 0xbaee
	s_movk_i32 s8, 0x3aee
	v_lshrrev_b32_e32 v49, 16, v16
	v_lshrrev_b32_e32 v59, 16, v18
	;; [unrolled: 1-line block ×4, first 2 shown]
	s_movk_i32 s9, 0x9c
	s_waitcnt vmcnt(0)
	s_barrier
	v_mul_f16_sdwa v60, v32, v53 dst_sel:DWORD dst_unused:UNUSED_PAD src0_sel:WORD_1 src1_sel:DWORD
	v_mul_f16_sdwa v61, v32, v15 dst_sel:DWORD dst_unused:UNUSED_PAD src0_sel:WORD_1 src1_sel:DWORD
	;; [unrolled: 1-line block ×7, first 2 shown]
	v_fma_f16 v15, v32, v15, v60
	v_fma_f16 v32, v32, v53, -v61
	v_fma_f16 v19, v33, v19, v62
	v_fma_f16 v33, v33, v54, -v63
	v_mul_f16_sdwa v67, v35, v22 dst_sel:DWORD dst_unused:UNUSED_PAD src0_sel:WORD_1 src1_sel:DWORD
	v_mul_f16_sdwa v68, v36, v57 dst_sel:DWORD dst_unused:UNUSED_PAD src0_sel:WORD_1 src1_sel:DWORD
	;; [unrolled: 1-line block ×3, first 2 shown]
	v_mul_f16_sdwa v74, v52, v39 dst_sel:DWORD dst_unused:UNUSED_PAD src0_sel:DWORD src1_sel:WORD_1
	v_mul_f16_sdwa v75, v30, v39 dst_sel:DWORD dst_unused:UNUSED_PAD src0_sel:DWORD src1_sel:WORD_1
	v_fma_f16 v20, v34, v20, v64
	v_fma_f16 v34, v34, v55, -v65
	v_fma_f16 v22, v35, v22, v66
	v_sub_f16_e32 v54, v32, v33
	v_add_f16_e32 v55, v48, v32
	v_add_f16_e32 v32, v32, v33
	v_fma_f16 v35, v35, v56, -v67
	v_fma_f16 v21, v36, v21, v68
	v_fma_f16 v36, v36, v57, -v69
	v_fma_f16 v30, v30, v39, v74
	v_fma_f16 v39, v52, v39, -v75
	v_add_f16_e32 v52, v29, v15
	v_add_f16_e32 v53, v15, v19
	v_sub_f16_e32 v15, v15, v19
	v_add_f16_e32 v57, v20, v22
	v_fma_f16 v32, v32, -0.5, v48
	v_mul_f16_sdwa v70, v37, v58 dst_sel:DWORD dst_unused:UNUSED_PAD src0_sel:WORD_1 src1_sel:DWORD
	v_add_f16_e32 v56, v16, v20
	v_fma_f16 v29, v53, -0.5, v29
	v_fma_f16 v53, v15, s8, v32
	v_fma_f16 v15, v15, s7, v32
	v_fma_f16 v16, v57, -0.5, v16
	v_sub_f16_e32 v32, v34, v35
	v_mul_f16_sdwa v71, v37, v23 dst_sel:DWORD dst_unused:UNUSED_PAD src0_sel:WORD_1 src1_sel:DWORD
	v_fma_f16 v23, v37, v23, v70
	v_add_f16_e32 v19, v52, v19
	v_fma_f16 v52, v54, s7, v29
	v_fma_f16 v29, v54, s8, v29
	;; [unrolled: 1-line block ×4, first 2 shown]
	v_add_f16_e32 v32, v49, v34
	v_add_f16_e32 v34, v34, v35
	v_fma_f16 v37, v37, v58, -v71
	v_add_f16_e32 v32, v32, v35
	v_fma_f16 v34, v34, -0.5, v49
	v_sub_f16_e32 v20, v20, v22
	v_add_f16_e32 v35, v21, v23
	v_mul_f16_sdwa v72, v38, v59 dst_sel:DWORD dst_unused:UNUSED_PAD src0_sel:WORD_1 src1_sel:DWORD
	v_add_f16_e32 v48, v56, v22
	v_fma_f16 v22, v20, s8, v34
	v_fma_f16 v20, v20, s7, v34
	v_add_f16_e32 v34, v17, v21
	v_fma_f16 v17, v35, -0.5, v17
	v_sub_f16_e32 v35, v36, v37
	v_mul_f16_sdwa v73, v38, v18 dst_sel:DWORD dst_unused:UNUSED_PAD src0_sel:WORD_1 src1_sel:DWORD
	v_fma_f16 v18, v38, v18, v72
	v_fma_f16 v49, v35, s7, v17
	;; [unrolled: 1-line block ×3, first 2 shown]
	v_add_f16_e32 v35, v50, v36
	v_add_f16_e32 v36, v36, v37
	v_fma_f16 v38, v38, v59, -v73
	v_add_f16_e32 v35, v35, v37
	v_fma_f16 v36, v36, -0.5, v50
	v_sub_f16_e32 v21, v21, v23
	v_add_f16_e32 v37, v18, v30
	v_add_f16_e32 v34, v34, v23
	v_fma_f16 v23, v21, s8, v36
	v_fma_f16 v21, v21, s7, v36
	v_add_f16_e32 v36, v14, v18
	v_fma_f16 v14, v37, -0.5, v14
	v_sub_f16_e32 v37, v38, v39
	v_fma_f16 v50, v37, s7, v14
	v_fma_f16 v37, v37, s8, v14
	v_add_f16_e32 v14, v51, v38
	v_add_f16_e32 v33, v55, v33
	;; [unrolled: 1-line block ×4, first 2 shown]
	v_fma_f16 v14, v14, -0.5, v51
	v_sub_f16_e32 v18, v18, v30
	v_add_f16_e32 v36, v36, v30
	v_fma_f16 v30, v18, s8, v14
	v_fma_f16 v18, v18, s7, v14
	v_mov_b32_e32 v14, 2
	v_mad_u32_u24 v38, v40, s9, 0
	v_lshlrev_b32_sdwa v39, v14, v41 dst_sel:DWORD dst_unused:UNUSED_PAD src0_sel:DWORD src1_sel:BYTE_0
	v_add3_u32 v38, v38, v39, v26
	v_pack_b32_f16 v19, v19, v33
	v_pack_b32_f16 v33, v52, v53
	;; [unrolled: 1-line block ×3, first 2 shown]
	ds_write2_b32 v38, v19, v33 offset1:13
	ds_write_b32 v38, v15 offset:104
	v_mad_u32_u24 v15, v42, s9, 0
	v_lshlrev_b32_sdwa v19, v14, v43 dst_sel:DWORD dst_unused:UNUSED_PAD src0_sel:DWORD src1_sel:BYTE_0
	v_add3_u32 v15, v15, v19, v26
	v_pack_b32_f16 v19, v48, v32
	v_pack_b32_f16 v22, v54, v22
	;; [unrolled: 1-line block ×3, first 2 shown]
	ds_write2_b32 v15, v19, v22 offset1:13
	ds_write_b32 v15, v16 offset:104
	v_mad_u32_u24 v15, v44, s9, 0
	v_lshlrev_b32_sdwa v16, v14, v45 dst_sel:DWORD dst_unused:UNUSED_PAD src0_sel:DWORD src1_sel:BYTE_0
	v_add3_u32 v15, v15, v16, v26
	v_pack_b32_f16 v16, v34, v35
	v_pack_b32_f16 v19, v49, v23
	ds_write2_b32 v15, v16, v19 offset1:13
	v_pack_b32_f16 v16, v17, v21
	ds_write_b32 v15, v16 offset:104
	v_mad_u32_u24 v15, v46, s9, 0
	v_lshlrev_b32_sdwa v16, v14, v47 dst_sel:DWORD dst_unused:UNUSED_PAD src0_sel:DWORD src1_sel:BYTE_0
	v_add3_u32 v15, v15, v16, v26
	v_pack_b32_f16 v16, v36, v55
	v_pack_b32_f16 v17, v50, v30
	ds_write2_b32 v15, v16, v17 offset1:13
	v_pack_b32_f16 v16, v37, v18
	ds_write_b32 v15, v16 offset:104
	s_and_saveexec_b64 s[4:5], s[0:1]
	s_cbranch_execz .LBB0_24
; %bb.23:
	v_add_u16_e32 v15, 0x9c, v5
	v_mul_lo_u16_sdwa v16, v15, s6 dst_sel:DWORD dst_unused:UNUSED_PAD src0_sel:BYTE_0 src1_sel:DWORD
	v_lshrrev_b16_e32 v17, 10, v16
	v_mul_lo_u16_e32 v16, 13, v17
	v_sub_u16_e32 v18, v15, v16
	v_lshlrev_b32_sdwa v15, v28, v18 dst_sel:DWORD dst_unused:UNUSED_PAD src0_sel:DWORD src1_sel:BYTE_0
	global_load_dwordx2 v[15:16], v15, s[12:13]
	v_lshrrev_b32_e32 v19, 16, v13
	v_lshrrev_b32_e32 v20, 16, v31
	v_mad_u32_u24 v17, v17, s9, 0
	v_lshlrev_b32_sdwa v14, v14, v18 dst_sel:DWORD dst_unused:UNUSED_PAD src0_sel:DWORD src1_sel:BYTE_0
	v_add3_u32 v14, v17, v14, v26
	s_waitcnt vmcnt(0)
	v_mul_f16_sdwa v17, v13, v15 dst_sel:DWORD dst_unused:UNUSED_PAD src0_sel:DWORD src1_sel:WORD_1
	v_mul_f16_sdwa v18, v31, v16 dst_sel:DWORD dst_unused:UNUSED_PAD src0_sel:DWORD src1_sel:WORD_1
	;; [unrolled: 1-line block ×4, first 2 shown]
	v_fma_f16 v17, v19, v15, -v17
	v_fma_f16 v18, v20, v16, -v18
	v_fma_f16 v13, v13, v15, v21
	v_fma_f16 v15, v31, v16, v22
	v_add_f16_e32 v16, v17, v18
	v_add_f16_e32 v20, v13, v15
	v_sub_f16_e32 v19, v13, v15
	v_sub_f16_e32 v21, v17, v18
	v_add_f16_e32 v17, v11, v17
	v_add_f16_e32 v13, v12, v13
	v_fma_f16 v11, v16, -0.5, v11
	v_fma_f16 v12, v20, -0.5, v12
	v_add_f16_e32 v16, v17, v18
	v_add_f16_e32 v13, v13, v15
	v_fma_f16 v15, v19, s7, v11
	v_fma_f16 v17, v21, s8, v12
	v_fma_f16 v11, v19, s8, v11
	v_fma_f16 v12, v21, s7, v12
	v_pack_b32_f16 v13, v13, v16
	v_pack_b32_f16 v11, v12, v11
	;; [unrolled: 1-line block ×3, first 2 shown]
	ds_write2_b32 v14, v13, v11 offset1:13
	ds_write_b32 v14, v12 offset:104
.LBB0_24:
	s_or_b64 exec, exec, s[4:5]
	v_mul_u32_u24_e32 v11, 6, v5
	v_lshlrev_b32_e32 v17, 2, v11
	s_waitcnt lgkmcnt(0)
	s_barrier
	global_load_dwordx4 v[11:14], v17, s[12:13] offset:104
	global_load_dwordx2 v[15:16], v17, s[12:13] offset:120
	ds_read2_b32 v[17:18], v6 offset0:39 offset1:78
	ds_read2_b32 v[19:20], v6 offset0:117 offset1:156
	ds_read2_b32 v[21:22], v6 offset0:195 offset1:234
	v_add_u32_e32 v23, 0x400, v6
	ds_read_b32 v26, v25
	ds_read_b32 v34, v6 offset:2028
	ds_read2_b32 v[28:29], v23 offset0:17 offset1:56
	ds_read2_b32 v[30:31], v23 offset0:95 offset1:134
	;; [unrolled: 1-line block ×3, first 2 shown]
	s_waitcnt lgkmcnt(7)
	v_lshrrev_b32_e32 v38, 16, v18
	s_waitcnt lgkmcnt(6)
	v_lshrrev_b32_e32 v39, 16, v20
	v_lshrrev_b32_e32 v35, 16, v19
	s_waitcnt lgkmcnt(1)
	v_lshrrev_b32_e32 v41, 16, v31
	s_waitcnt lgkmcnt(0)
	v_lshrrev_b32_e32 v42, 16, v33
	v_lshrrev_b32_e32 v36, 16, v21
	;; [unrolled: 1-line block ×8, first 2 shown]
	s_movk_i32 s0, 0x2b26
	s_mov_b32 s1, 0xbb00
	s_mov_b32 s4, 0xbcab
	s_movk_i32 s5, 0x39e0
	s_mov_b32 s6, 0xb9e0
	s_mov_b32 s7, 0xb574
	s_movk_i32 s8, 0x3574
	s_mov_b32 s9, 0xb70e
	s_waitcnt vmcnt(0)
	s_barrier
	v_lshl_add_u32 v24, v24, 2, v27
	v_mul_f16_sdwa v47, v11, v38 dst_sel:DWORD dst_unused:UNUSED_PAD src0_sel:WORD_1 src1_sel:DWORD
	v_mul_f16_sdwa v48, v11, v18 dst_sel:DWORD dst_unused:UNUSED_PAD src0_sel:WORD_1 src1_sel:DWORD
	;; [unrolled: 1-line block ×4, first 2 shown]
	v_mul_f16_sdwa v55, v41, v15 dst_sel:DWORD dst_unused:UNUSED_PAD src0_sel:DWORD src1_sel:WORD_1
	v_mul_f16_sdwa v56, v31, v15 dst_sel:DWORD dst_unused:UNUSED_PAD src0_sel:DWORD src1_sel:WORD_1
	;; [unrolled: 1-line block ×4, first 2 shown]
	v_mul_f16_sdwa v51, v13, v40 dst_sel:DWORD dst_unused:UNUSED_PAD src0_sel:WORD_1 src1_sel:DWORD
	v_mul_f16_sdwa v52, v13, v22 dst_sel:DWORD dst_unused:UNUSED_PAD src0_sel:WORD_1 src1_sel:DWORD
	;; [unrolled: 1-line block ×4, first 2 shown]
	v_mul_f16_sdwa v59, v35, v11 dst_sel:DWORD dst_unused:UNUSED_PAD src0_sel:DWORD src1_sel:WORD_1
	v_mul_f16_sdwa v60, v19, v11 dst_sel:DWORD dst_unused:UNUSED_PAD src0_sel:DWORD src1_sel:WORD_1
	v_mul_f16_sdwa v61, v36, v12 dst_sel:DWORD dst_unused:UNUSED_PAD src0_sel:DWORD src1_sel:WORD_1
	v_mul_f16_sdwa v62, v21, v12 dst_sel:DWORD dst_unused:UNUSED_PAD src0_sel:DWORD src1_sel:WORD_1
	v_mul_f16_sdwa v69, v37, v16 dst_sel:DWORD dst_unused:UNUSED_PAD src0_sel:DWORD src1_sel:WORD_1
	v_mul_f16_sdwa v70, v34, v16 dst_sel:DWORD dst_unused:UNUSED_PAD src0_sel:DWORD src1_sel:WORD_1
	v_fma_f16 v18, v11, v18, v47
	v_fma_f16 v38, v11, v38, -v48
	v_fma_f16 v20, v12, v20, v49
	v_fma_f16 v39, v12, v39, -v50
	;; [unrolled: 2-line block ×9, first 2 shown]
	v_add_f16_e32 v35, v18, v33
	v_add_f16_e32 v36, v38, v42
	v_sub_f16_e32 v18, v18, v33
	v_sub_f16_e32 v33, v38, v42
	v_add_f16_e32 v37, v20, v31
	v_add_f16_e32 v38, v39, v41
	v_mul_f16_sdwa v63, v43, v13 dst_sel:DWORD dst_unused:UNUSED_PAD src0_sel:DWORD src1_sel:WORD_1
	v_mul_f16_sdwa v64, v28, v13 dst_sel:DWORD dst_unused:UNUSED_PAD src0_sel:DWORD src1_sel:WORD_1
	;; [unrolled: 1-line block ×6, first 2 shown]
	v_sub_f16_e32 v20, v20, v31
	v_sub_f16_e32 v31, v39, v41
	v_add_f16_e32 v39, v22, v29
	v_add_f16_e32 v41, v40, v46
	v_sub_f16_e32 v22, v29, v22
	v_sub_f16_e32 v29, v46, v40
	v_add_f16_e32 v40, v37, v35
	v_add_f16_e32 v42, v38, v36
	v_fma_f16 v28, v28, v13, v63
	v_fma_f16 v13, v43, v13, -v64
	v_fma_f16 v30, v30, v14, v65
	v_fma_f16 v14, v44, v14, -v66
	;; [unrolled: 2-line block ×3, first 2 shown]
	v_sub_f16_e32 v43, v37, v35
	v_sub_f16_e32 v44, v38, v36
	;; [unrolled: 1-line block ×6, first 2 shown]
	v_add_f16_e32 v45, v22, v20
	v_add_f16_e32 v46, v29, v31
	v_sub_f16_e32 v47, v22, v20
	v_sub_f16_e32 v48, v29, v31
	;; [unrolled: 1-line block ×4, first 2 shown]
	v_add_f16_e32 v39, v39, v40
	v_add_f16_e32 v40, v41, v42
	v_sub_f16_e32 v22, v18, v22
	v_sub_f16_e32 v29, v33, v29
	v_add_f16_e32 v18, v45, v18
	v_add_f16_e32 v33, v46, v33
	;; [unrolled: 1-line block ×3, first 2 shown]
	v_add_f16_sdwa v26, v40, v26 dst_sel:DWORD dst_unused:UNUSED_PAD src0_sel:DWORD src1_sel:WORD_1
	v_mul_f16_e32 v35, 0x3a52, v35
	v_mul_f16_e32 v36, 0x3a52, v36
	;; [unrolled: 1-line block ×8, first 2 shown]
	v_fma_f16 v39, v39, s4, v41
	v_fma_f16 v40, v40, s4, v26
	;; [unrolled: 1-line block ×4, first 2 shown]
	v_fma_f16 v42, v43, s5, -v42
	v_fma_f16 v45, v44, s5, -v45
	;; [unrolled: 1-line block ×4, first 2 shown]
	v_fma_f16 v43, v22, s7, v46
	v_fma_f16 v44, v29, s7, v47
	v_fma_f16 v20, v20, s1, -v46
	v_fma_f16 v22, v22, s8, -v48
	;; [unrolled: 1-line block ×4, first 2 shown]
	v_add_f16_e32 v37, v37, v39
	v_add_f16_e32 v38, v38, v40
	;; [unrolled: 1-line block ×6, first 2 shown]
	v_fma_f16 v39, v18, s9, v43
	v_fma_f16 v40, v33, s9, v44
	v_fma_f16 v20, v18, s9, v20
	v_fma_f16 v18, v18, s9, v22
	v_fma_f16 v22, v33, s9, v29
	v_fma_f16 v31, v33, s9, v31
	v_add_f16_e32 v29, v40, v37
	v_sub_f16_e32 v33, v38, v39
	v_add_f16_e32 v43, v22, v35
	v_sub_f16_e32 v44, v36, v18
	v_sub_f16_e32 v22, v35, v22
	v_add_f16_e32 v18, v18, v36
	v_sub_f16_e32 v35, v37, v40
	v_add_f16_e32 v36, v39, v38
	v_add_f16_e32 v37, v19, v34
	;; [unrolled: 1-line block ×3, first 2 shown]
	v_sub_f16_e32 v19, v19, v34
	v_sub_f16_e32 v11, v11, v16
	v_add_f16_e32 v16, v21, v32
	v_add_f16_e32 v34, v12, v15
	v_sub_f16_e32 v21, v21, v32
	v_sub_f16_e32 v12, v12, v15
	v_add_f16_e32 v15, v28, v30
	v_add_f16_e32 v32, v13, v14
	;; [unrolled: 4-line block ×3, first 2 shown]
	v_sub_f16_e32 v46, v42, v31
	v_add_f16_e32 v47, v20, v45
	v_add_f16_e32 v31, v31, v42
	v_sub_f16_e32 v20, v45, v20
	v_sub_f16_e32 v39, v16, v37
	;; [unrolled: 1-line block ×7, first 2 shown]
	v_add_f16_e32 v42, v28, v21
	v_add_f16_e32 v45, v13, v12
	v_sub_f16_e32 v48, v28, v21
	v_sub_f16_e32 v49, v13, v12
	;; [unrolled: 1-line block ×4, first 2 shown]
	v_add_f16_e32 v14, v15, v14
	v_add_f16_e32 v15, v32, v30
	v_sub_f16_e32 v28, v19, v28
	v_sub_f16_e32 v13, v11, v13
	v_add_f16_e32 v19, v42, v19
	v_add_f16_e32 v11, v45, v11
	;; [unrolled: 1-line block ×3, first 2 shown]
	v_add_f16_sdwa v17, v15, v17 dst_sel:DWORD dst_unused:UNUSED_PAD src0_sel:DWORD src1_sel:WORD_1
	v_mul_f16_e32 v32, 0x3a52, v37
	v_mul_f16_e32 v37, 0x3a52, v38
	;; [unrolled: 1-line block ×8, first 2 shown]
	v_fma_f16 v14, v14, s4, v30
	v_fma_f16 v15, v15, s4, v17
	;; [unrolled: 1-line block ×4, first 2 shown]
	v_fma_f16 v38, v39, s5, -v38
	v_fma_f16 v42, v40, s5, -v42
	;; [unrolled: 1-line block ×4, first 2 shown]
	v_fma_f16 v39, v28, s7, v45
	v_fma_f16 v40, v13, s7, v48
	v_fma_f16 v21, v21, s1, -v45
	v_fma_f16 v12, v12, s1, -v48
	;; [unrolled: 1-line block ×4, first 2 shown]
	v_add_f16_e32 v16, v16, v14
	v_add_f16_e32 v34, v34, v15
	;; [unrolled: 1-line block ×6, first 2 shown]
	v_fma_f16 v32, v19, s9, v39
	v_fma_f16 v37, v11, s9, v40
	;; [unrolled: 1-line block ×6, first 2 shown]
	v_add_f16_e32 v39, v11, v14
	v_sub_f16_e32 v40, v15, v19
	v_sub_f16_e32 v11, v14, v11
	v_add_f16_e32 v14, v19, v15
	v_pack_b32_f16 v19, v41, v26
	v_pack_b32_f16 v26, v29, v33
	ds_write2_b32 v6, v19, v26 offset1:39
	v_pack_b32_f16 v19, v43, v44
	v_pack_b32_f16 v26, v46, v47
	ds_write2_b32 v6, v19, v26 offset0:78 offset1:117
	v_pack_b32_f16 v19, v31, v20
	v_pack_b32_f16 v18, v22, v18
	v_add_f16_e32 v13, v37, v16
	v_sub_f16_e32 v28, v34, v32
	ds_write2_b32 v6, v19, v18 offset0:156 offset1:195
	v_pack_b32_f16 v18, v35, v36
	v_pack_b32_f16 v17, v30, v17
	v_add_u32_e32 v19, 0x200, v6
	v_sub_f16_e32 v45, v38, v12
	v_add_f16_e32 v48, v21, v42
	v_add_f16_e32 v12, v12, v38
	v_sub_f16_e32 v21, v42, v21
	ds_write2_b32 v19, v18, v17 offset0:106 offset1:145
	v_pack_b32_f16 v13, v13, v28
	v_pack_b32_f16 v17, v39, v40
	v_sub_f16_e32 v15, v16, v37
	v_add_f16_e32 v16, v32, v34
	ds_write2_b32 v23, v13, v17 offset0:56 offset1:95
	v_pack_b32_f16 v13, v45, v48
	v_pack_b32_f16 v12, v12, v21
	ds_write2_b32 v23, v13, v12 offset0:134 offset1:173
	v_pack_b32_f16 v11, v11, v14
	v_pack_b32_f16 v12, v15, v16
	ds_write2_b32 v23, v11, v12 offset0:212 offset1:251
	v_mov_b32_e32 v11, s13
	v_add_co_u32_e64 v7, s[0:1], s12, v7
	v_addc_co_u32_e64 v8, s[0:1], v11, v8, s[0:1]
	s_waitcnt lgkmcnt(0)
	s_barrier
	global_load_dword v20, v[7:8], off offset:1040
	v_add_co_u32_e64 v7, s[0:1], s12, v9
	v_addc_co_u32_e64 v8, s[0:1], v11, v10, s[0:1]
	global_load_dword v21, v[7:8], off offset:1196
	global_load_dword v22, v[7:8], off offset:1352
	;; [unrolled: 1-line block ×6, first 2 shown]
	ds_read2_b32 v[7:8], v23 offset0:17 offset1:56
	ds_read2_b32 v[9:10], v6 offset0:39 offset1:78
	;; [unrolled: 1-line block ×6, first 2 shown]
	ds_read_b32 v25, v25
	s_mov_b32 s0, 0xffff
	s_waitcnt vmcnt(6) lgkmcnt(6)
	v_pk_mul_f16 v23, v20, v7 op_sel:[0,1]
	v_pk_fma_f16 v27, v20, v7, v23 op_sel:[0,0,1] op_sel_hi:[1,1,0]
	v_pk_fma_f16 v7, v20, v7, v23 op_sel:[0,0,1] op_sel_hi:[1,0,0] neg_lo:[1,0,0] neg_hi:[1,0,0]
	ds_read_b32 v20, v6 offset:2028
	v_bfi_b32 v7, s0, v27, v7
	s_waitcnt lgkmcnt(1)
	v_pk_add_f16 v7, v25, v7 neg_lo:[0,1] neg_hi:[0,1]
	v_pk_fma_f16 v23, v25, 2.0, v7 op_sel_hi:[1,0,1] neg_lo:[0,0,1] neg_hi:[0,0,1]
	s_waitcnt vmcnt(5)
	v_pk_mul_f16 v25, v21, v8 op_sel:[0,1]
	v_pk_fma_f16 v27, v21, v8, v25 op_sel:[0,0,1] op_sel_hi:[1,1,0]
	v_pk_fma_f16 v8, v21, v8, v25 op_sel:[0,0,1] op_sel_hi:[1,0,0] neg_lo:[1,0,0] neg_hi:[1,0,0]
	s_waitcnt vmcnt(4)
	v_pk_mul_f16 v21, v22, v11 op_sel:[0,1]
	v_pk_fma_f16 v25, v22, v11, v21 op_sel:[0,0,1] op_sel_hi:[1,1,0]
	v_pk_fma_f16 v11, v22, v11, v21 op_sel:[0,0,1] op_sel_hi:[1,0,0] neg_lo:[1,0,0] neg_hi:[1,0,0]
	;; [unrolled: 4-line block ×3, first 2 shown]
	s_waitcnt vmcnt(1)
	v_pk_mul_f16 v21, v29, v15 op_sel:[0,1]
	v_bfi_b32 v12, s0, v22, v12
	v_pk_fma_f16 v22, v29, v15, v21 op_sel:[0,0,1] op_sel_hi:[1,1,0]
	v_pk_fma_f16 v15, v29, v15, v21 op_sel:[0,0,1] op_sel_hi:[1,0,0] neg_lo:[1,0,0] neg_hi:[1,0,0]
	s_waitcnt vmcnt(0)
	v_pk_mul_f16 v21, v16, v30 op_sel:[0,1]
	v_bfi_b32 v8, s0, v27, v8
	v_bfi_b32 v15, s0, v22, v15
	v_pk_fma_f16 v22, v16, v30, v21 op_sel:[0,0,1] op_sel_hi:[1,1,0]
	v_pk_fma_f16 v16, v16, v30, v21 op_sel:[0,0,1] op_sel_hi:[1,0,0] neg_lo:[0,0,1] neg_hi:[0,0,1]
	s_waitcnt lgkmcnt(0)
	v_pk_mul_f16 v21, v20, v28 op_sel:[0,1]
	v_pk_add_f16 v8, v9, v8 neg_lo:[0,1] neg_hi:[0,1]
	v_bfi_b32 v16, s0, v22, v16
	v_pk_fma_f16 v22, v20, v28, v21 op_sel:[0,0,1] op_sel_hi:[1,1,0]
	v_pk_fma_f16 v20, v20, v28, v21 op_sel:[0,0,1] op_sel_hi:[1,0,0] neg_lo:[0,0,1] neg_hi:[0,0,1]
	v_pk_fma_f16 v9, v9, 2.0, v8 op_sel_hi:[1,0,1] neg_lo:[0,0,1] neg_hi:[0,0,1]
	v_bfi_b32 v11, s0, v25, v11
	v_bfi_b32 v20, s0, v22, v20
	v_pk_add_f16 v11, v10, v11 neg_lo:[0,1] neg_hi:[0,1]
	v_pk_add_f16 v12, v13, v12 neg_lo:[0,1] neg_hi:[0,1]
	;; [unrolled: 1-line block ×5, first 2 shown]
	s_barrier
	ds_write2_b32 v6, v23, v9 offset1:39
	v_add_u32_e32 v9, 0x400, v24
	v_pk_fma_f16 v10, v10, 2.0, v11 op_sel_hi:[1,0,1] neg_lo:[0,0,1] neg_hi:[0,0,1]
	v_pk_fma_f16 v13, v13, 2.0, v12 op_sel_hi:[1,0,1] neg_lo:[0,0,1] neg_hi:[0,0,1]
	;; [unrolled: 1-line block ×5, first 2 shown]
	ds_write2_b32 v9, v8, v11 offset0:56 offset1:95
	ds_write2_b32 v6, v10, v13 offset0:78 offset1:117
	;; [unrolled: 1-line block ×6, first 2 shown]
	s_waitcnt lgkmcnt(0)
	s_barrier
	s_and_saveexec_b64 s[0:1], vcc
	s_cbranch_execz .LBB0_26
; %bb.25:
	v_mul_lo_u32 v6, s3, v3
	v_mul_lo_u32 v7, s2, v4
	v_mad_u64_u32 v[3:4], s[0:1], s2, v3, 0
	v_lshl_add_u32 v9, v5, 2, v0
	v_mov_b32_e32 v0, s11
	v_add3_u32 v4, v4, v7, v6
	v_lshlrev_b64 v[3:4], 2, v[3:4]
	v_mov_b32_e32 v6, 0
	v_add_co_u32_e32 v3, vcc, s10, v3
	v_addc_co_u32_e32 v4, vcc, v0, v4, vcc
	v_lshlrev_b64 v[0:1], 2, v[1:2]
	ds_read2_b32 v[7:8], v9 offset1:39
	v_add_co_u32_e32 v10, vcc, v3, v0
	v_addc_co_u32_e32 v4, vcc, v4, v1, vcc
	v_lshlrev_b64 v[0:1], 2, v[5:6]
	ds_read2_b32 v[2:3], v9 offset0:78 offset1:117
	v_add_co_u32_e32 v0, vcc, v10, v0
	v_addc_co_u32_e32 v1, vcc, v4, v1, vcc
	s_waitcnt lgkmcnt(1)
	global_store_dword v[0:1], v7, off
	v_add_u32_e32 v0, 39, v5
	v_mov_b32_e32 v1, v6
	v_lshlrev_b64 v[0:1], 2, v[0:1]
	v_add_u32_e32 v7, 0x400, v9
	v_add_co_u32_e32 v0, vcc, v10, v0
	v_addc_co_u32_e32 v1, vcc, v4, v1, vcc
	global_store_dword v[0:1], v8, off
	v_add_u32_e32 v0, 0x4e, v5
	v_mov_b32_e32 v1, v6
	v_lshlrev_b64 v[0:1], 2, v[0:1]
	v_add_co_u32_e32 v0, vcc, v10, v0
	v_addc_co_u32_e32 v1, vcc, v4, v1, vcc
	s_waitcnt lgkmcnt(0)
	global_store_dword v[0:1], v2, off
	v_add_u32_e32 v0, 0x75, v5
	v_mov_b32_e32 v1, v6
	v_lshlrev_b64 v[0:1], 2, v[0:1]
	v_add_co_u32_e32 v0, vcc, v10, v0
	v_addc_co_u32_e32 v1, vcc, v4, v1, vcc
	global_store_dword v[0:1], v3, off
	v_add_u32_e32 v0, 0x9c, v5
	v_mov_b32_e32 v1, v6
	ds_read2_b32 v[2:3], v9 offset0:156 offset1:195
	v_lshlrev_b64 v[0:1], 2, v[0:1]
	v_add_co_u32_e32 v0, vcc, v10, v0
	v_addc_co_u32_e32 v1, vcc, v4, v1, vcc
	s_waitcnt lgkmcnt(0)
	global_store_dword v[0:1], v2, off
	v_add_u32_e32 v0, 0xc3, v5
	v_mov_b32_e32 v1, v6
	v_lshlrev_b64 v[0:1], 2, v[0:1]
	v_add_u32_e32 v2, 0x200, v9
	v_add_co_u32_e32 v0, vcc, v10, v0
	v_addc_co_u32_e32 v1, vcc, v4, v1, vcc
	global_store_dword v[0:1], v3, off
	v_add_u32_e32 v0, 0xea, v5
	v_mov_b32_e32 v1, v6
	ds_read2_b32 v[2:3], v2 offset0:106 offset1:145
	v_lshlrev_b64 v[0:1], 2, v[0:1]
	v_add_co_u32_e32 v0, vcc, v10, v0
	v_addc_co_u32_e32 v1, vcc, v4, v1, vcc
	s_waitcnt lgkmcnt(0)
	global_store_dword v[0:1], v2, off
	v_add_u32_e32 v0, 0x111, v5
	v_mov_b32_e32 v1, v6
	v_lshlrev_b64 v[0:1], 2, v[0:1]
	v_add_co_u32_e32 v0, vcc, v10, v0
	v_addc_co_u32_e32 v1, vcc, v4, v1, vcc
	global_store_dword v[0:1], v3, off
	v_add_u32_e32 v0, 0x138, v5
	v_mov_b32_e32 v1, v6
	ds_read2_b32 v[2:3], v7 offset0:56 offset1:95
	v_lshlrev_b64 v[0:1], 2, v[0:1]
	v_add_co_u32_e32 v0, vcc, v10, v0
	v_addc_co_u32_e32 v1, vcc, v4, v1, vcc
	s_waitcnt lgkmcnt(0)
	global_store_dword v[0:1], v2, off
	v_add_u32_e32 v0, 0x15f, v5
	v_mov_b32_e32 v1, v6
	v_lshlrev_b64 v[0:1], 2, v[0:1]
	;; [unrolled: 14-line block ×3, first 2 shown]
	v_add_co_u32_e32 v0, vcc, v10, v0
	v_addc_co_u32_e32 v1, vcc, v4, v1, vcc
	global_store_dword v[0:1], v3, off
	v_add_u32_e32 v0, 0x1d4, v5
	v_mov_b32_e32 v1, v6
	ds_read2_b32 v[2:3], v7 offset0:212 offset1:251
	v_lshlrev_b64 v[0:1], 2, v[0:1]
	v_add_u32_e32 v5, 0x1fb, v5
	v_add_co_u32_e32 v0, vcc, v10, v0
	v_addc_co_u32_e32 v1, vcc, v4, v1, vcc
	s_waitcnt lgkmcnt(0)
	global_store_dword v[0:1], v2, off
	v_lshlrev_b64 v[0:1], 2, v[5:6]
	v_add_co_u32_e32 v0, vcc, v10, v0
	v_addc_co_u32_e32 v1, vcc, v4, v1, vcc
	global_store_dword v[0:1], v3, off
.LBB0_26:
	s_endpgm
	.section	.rodata,"a",@progbits
	.p2align	6, 0x0
	.amdhsa_kernel fft_rtc_back_len546_factors_13_3_7_2_wgs_117_tpt_39_halfLds_half_op_CI_CI_unitstride_sbrr_C2R_dirReg
		.amdhsa_group_segment_fixed_size 0
		.amdhsa_private_segment_fixed_size 0
		.amdhsa_kernarg_size 104
		.amdhsa_user_sgpr_count 6
		.amdhsa_user_sgpr_private_segment_buffer 1
		.amdhsa_user_sgpr_dispatch_ptr 0
		.amdhsa_user_sgpr_queue_ptr 0
		.amdhsa_user_sgpr_kernarg_segment_ptr 1
		.amdhsa_user_sgpr_dispatch_id 0
		.amdhsa_user_sgpr_flat_scratch_init 0
		.amdhsa_user_sgpr_private_segment_size 0
		.amdhsa_uses_dynamic_stack 0
		.amdhsa_system_sgpr_private_segment_wavefront_offset 0
		.amdhsa_system_sgpr_workgroup_id_x 1
		.amdhsa_system_sgpr_workgroup_id_y 0
		.amdhsa_system_sgpr_workgroup_id_z 0
		.amdhsa_system_sgpr_workgroup_info 0
		.amdhsa_system_vgpr_workitem_id 0
		.amdhsa_next_free_vgpr 110
		.amdhsa_next_free_sgpr 29
		.amdhsa_reserve_vcc 1
		.amdhsa_reserve_flat_scratch 0
		.amdhsa_float_round_mode_32 0
		.amdhsa_float_round_mode_16_64 0
		.amdhsa_float_denorm_mode_32 3
		.amdhsa_float_denorm_mode_16_64 3
		.amdhsa_dx10_clamp 1
		.amdhsa_ieee_mode 1
		.amdhsa_fp16_overflow 0
		.amdhsa_exception_fp_ieee_invalid_op 0
		.amdhsa_exception_fp_denorm_src 0
		.amdhsa_exception_fp_ieee_div_zero 0
		.amdhsa_exception_fp_ieee_overflow 0
		.amdhsa_exception_fp_ieee_underflow 0
		.amdhsa_exception_fp_ieee_inexact 0
		.amdhsa_exception_int_div_zero 0
	.end_amdhsa_kernel
	.text
.Lfunc_end0:
	.size	fft_rtc_back_len546_factors_13_3_7_2_wgs_117_tpt_39_halfLds_half_op_CI_CI_unitstride_sbrr_C2R_dirReg, .Lfunc_end0-fft_rtc_back_len546_factors_13_3_7_2_wgs_117_tpt_39_halfLds_half_op_CI_CI_unitstride_sbrr_C2R_dirReg
                                        ; -- End function
	.section	.AMDGPU.csdata,"",@progbits
; Kernel info:
; codeLenInByte = 12924
; NumSgprs: 33
; NumVgprs: 110
; ScratchSize: 0
; MemoryBound: 0
; FloatMode: 240
; IeeeMode: 1
; LDSByteSize: 0 bytes/workgroup (compile time only)
; SGPRBlocks: 4
; VGPRBlocks: 27
; NumSGPRsForWavesPerEU: 33
; NumVGPRsForWavesPerEU: 110
; Occupancy: 2
; WaveLimiterHint : 1
; COMPUTE_PGM_RSRC2:SCRATCH_EN: 0
; COMPUTE_PGM_RSRC2:USER_SGPR: 6
; COMPUTE_PGM_RSRC2:TRAP_HANDLER: 0
; COMPUTE_PGM_RSRC2:TGID_X_EN: 1
; COMPUTE_PGM_RSRC2:TGID_Y_EN: 0
; COMPUTE_PGM_RSRC2:TGID_Z_EN: 0
; COMPUTE_PGM_RSRC2:TIDIG_COMP_CNT: 0
	.type	__hip_cuid_225b83d23e940bb9,@object ; @__hip_cuid_225b83d23e940bb9
	.section	.bss,"aw",@nobits
	.globl	__hip_cuid_225b83d23e940bb9
__hip_cuid_225b83d23e940bb9:
	.byte	0                               ; 0x0
	.size	__hip_cuid_225b83d23e940bb9, 1

	.ident	"AMD clang version 19.0.0git (https://github.com/RadeonOpenCompute/llvm-project roc-6.4.0 25133 c7fe45cf4b819c5991fe208aaa96edf142730f1d)"
	.section	".note.GNU-stack","",@progbits
	.addrsig
	.addrsig_sym __hip_cuid_225b83d23e940bb9
	.amdgpu_metadata
---
amdhsa.kernels:
  - .args:
      - .actual_access:  read_only
        .address_space:  global
        .offset:         0
        .size:           8
        .value_kind:     global_buffer
      - .offset:         8
        .size:           8
        .value_kind:     by_value
      - .actual_access:  read_only
        .address_space:  global
        .offset:         16
        .size:           8
        .value_kind:     global_buffer
      - .actual_access:  read_only
        .address_space:  global
        .offset:         24
        .size:           8
        .value_kind:     global_buffer
      - .actual_access:  read_only
        .address_space:  global
        .offset:         32
        .size:           8
        .value_kind:     global_buffer
      - .offset:         40
        .size:           8
        .value_kind:     by_value
      - .actual_access:  read_only
        .address_space:  global
        .offset:         48
        .size:           8
        .value_kind:     global_buffer
      - .actual_access:  read_only
        .address_space:  global
        .offset:         56
        .size:           8
        .value_kind:     global_buffer
      - .offset:         64
        .size:           4
        .value_kind:     by_value
      - .actual_access:  read_only
        .address_space:  global
        .offset:         72
        .size:           8
        .value_kind:     global_buffer
      - .actual_access:  read_only
        .address_space:  global
        .offset:         80
        .size:           8
        .value_kind:     global_buffer
      - .actual_access:  read_only
        .address_space:  global
        .offset:         88
        .size:           8
        .value_kind:     global_buffer
      - .actual_access:  write_only
        .address_space:  global
        .offset:         96
        .size:           8
        .value_kind:     global_buffer
    .group_segment_fixed_size: 0
    .kernarg_segment_align: 8
    .kernarg_segment_size: 104
    .language:       OpenCL C
    .language_version:
      - 2
      - 0
    .max_flat_workgroup_size: 117
    .name:           fft_rtc_back_len546_factors_13_3_7_2_wgs_117_tpt_39_halfLds_half_op_CI_CI_unitstride_sbrr_C2R_dirReg
    .private_segment_fixed_size: 0
    .sgpr_count:     33
    .sgpr_spill_count: 0
    .symbol:         fft_rtc_back_len546_factors_13_3_7_2_wgs_117_tpt_39_halfLds_half_op_CI_CI_unitstride_sbrr_C2R_dirReg.kd
    .uniform_work_group_size: 1
    .uses_dynamic_stack: false
    .vgpr_count:     110
    .vgpr_spill_count: 0
    .wavefront_size: 64
amdhsa.target:   amdgcn-amd-amdhsa--gfx906
amdhsa.version:
  - 1
  - 2
...

	.end_amdgpu_metadata
